;; amdgpu-corpus repo=ROCm/rocFFT kind=compiled arch=gfx950 opt=O3
	.text
	.amdgcn_target "amdgcn-amd-amdhsa--gfx950"
	.amdhsa_code_object_version 6
	.protected	fft_rtc_fwd_len96_factors_4_3_8_wgs_192_tpt_8_dim3_sp_ip_CI_sbcc_twdbase8_3step_dirReg ; -- Begin function fft_rtc_fwd_len96_factors_4_3_8_wgs_192_tpt_8_dim3_sp_ip_CI_sbcc_twdbase8_3step_dirReg
	.globl	fft_rtc_fwd_len96_factors_4_3_8_wgs_192_tpt_8_dim3_sp_ip_CI_sbcc_twdbase8_3step_dirReg
	.p2align	8
	.type	fft_rtc_fwd_len96_factors_4_3_8_wgs_192_tpt_8_dim3_sp_ip_CI_sbcc_twdbase8_3step_dirReg,@function
fft_rtc_fwd_len96_factors_4_3_8_wgs_192_tpt_8_dim3_sp_ip_CI_sbcc_twdbase8_3step_dirReg: ; @fft_rtc_fwd_len96_factors_4_3_8_wgs_192_tpt_8_dim3_sp_ip_CI_sbcc_twdbase8_3step_dirReg
; %bb.0:
	s_load_dwordx4 s[4:7], s[0:1], 0x10
	s_mov_b32 s3, 0
	s_mov_b64 s[20:21], 0
	s_waitcnt lgkmcnt(0)
	s_load_dwordx2 s[10:11], s[4:5], 0x8
	s_waitcnt lgkmcnt(0)
	s_add_u32 s8, s10, -1
	s_addc_u32 s9, s11, -1
	s_add_u32 s12, 0, 0xaaaa0000
	s_addc_u32 s13, 0, 42
	s_mul_hi_u32 s15, s12, 0xffffffe8
	s_add_i32 s13, s13, 0xaaaaa80
	s_sub_i32 s15, s15, s12
	s_mul_i32 s18, s13, 0xffffffe8
	s_mul_i32 s14, s12, 0xffffffe8
	s_add_i32 s15, s15, s18
	s_mul_hi_u32 s16, s13, s14
	s_mul_i32 s17, s13, s14
	s_mul_i32 s19, s12, s15
	s_mul_hi_u32 s14, s12, s14
	s_mul_hi_u32 s18, s12, s15
	s_add_u32 s14, s14, s19
	s_addc_u32 s18, 0, s18
	s_add_u32 s14, s14, s17
	s_mul_hi_u32 s19, s13, s15
	s_addc_u32 s14, s18, s16
	s_addc_u32 s16, s19, 0
	s_mul_i32 s15, s13, s15
	s_add_u32 s14, s14, s15
	v_mov_b32_e32 v1, s14
	s_addc_u32 s15, 0, s16
	v_add_co_u32_e32 v1, vcc, s12, v1
	s_cmp_lg_u64 vcc, 0
	s_addc_u32 s12, s13, s15
	v_readfirstlane_b32 s15, v1
	s_mul_i32 s14, s8, s12
	s_mul_hi_u32 s16, s8, s15
	s_mul_hi_u32 s13, s8, s12
	s_add_u32 s14, s16, s14
	s_addc_u32 s13, 0, s13
	s_mul_hi_u32 s17, s9, s15
	s_mul_i32 s15, s9, s15
	s_add_u32 s14, s14, s15
	s_mul_hi_u32 s16, s9, s12
	s_addc_u32 s13, s13, s17
	s_addc_u32 s14, s16, 0
	s_mul_i32 s12, s9, s12
	s_add_u32 s12, s13, s12
	s_addc_u32 s13, 0, s14
	s_add_u32 s14, s12, 1
	s_addc_u32 s15, s13, 0
	s_add_u32 s16, s12, 2
	s_mul_i32 s18, s13, 24
	s_mul_hi_u32 s19, s12, 24
	s_addc_u32 s17, s13, 0
	s_add_i32 s19, s19, s18
	s_mul_i32 s18, s12, 24
	v_mov_b32_e32 v1, s18
	v_sub_co_u32_e32 v1, vcc, s8, v1
	s_cmp_lg_u64 vcc, 0
	s_subb_u32 s8, s9, s19
	v_subrev_co_u32_e32 v2, vcc, 24, v1
	s_cmp_lg_u64 vcc, 0
	s_subb_u32 s9, s8, 0
	v_readfirstlane_b32 s18, v2
	s_cmp_gt_u32 s18, 23
	s_cselect_b32 s18, -1, 0
	s_cmp_eq_u32 s9, 0
	s_cselect_b32 s9, s18, -1
	s_cmp_lg_u32 s9, 0
	s_cselect_b32 s9, s16, s14
	s_cselect_b32 s14, s17, s15
	v_readfirstlane_b32 s15, v1
	s_cmp_gt_u32 s15, 23
	s_cselect_b32 s15, -1, 0
	s_cmp_eq_u32 s8, 0
	s_cselect_b32 s8, s15, -1
	s_cmp_lg_u32 s8, 0
	s_cselect_b32 s9, s9, s12
	s_cselect_b32 s8, s14, s13
	s_add_u32 s18, s9, 1
	s_addc_u32 s19, s8, 0
	v_mov_b64_e32 v[2:3], s[18:19]
	v_cmp_lt_u64_e32 vcc, s[2:3], v[2:3]
	s_cbranch_vccnz .LBB0_2
; %bb.1:
	v_cvt_f32_u32_e32 v1, s18
	s_sub_i32 s8, 0, s18
	s_mov_b32 s21, s3
	v_rcp_iflag_f32_e32 v1, v1
	s_nop 0
	v_mul_f32_e32 v1, 0x4f7ffffe, v1
	v_cvt_u32_f32_e32 v1, v1
	s_nop 0
	v_readfirstlane_b32 s9, v1
	s_mul_i32 s8, s8, s9
	s_mul_hi_u32 s8, s9, s8
	s_add_i32 s9, s9, s8
	s_mul_hi_u32 s8, s2, s9
	s_mul_i32 s12, s8, s18
	s_sub_i32 s12, s2, s12
	s_add_i32 s9, s8, 1
	s_sub_i32 s13, s12, s18
	s_cmp_ge_u32 s12, s18
	s_cselect_b32 s8, s9, s8
	s_cselect_b32 s12, s13, s12
	s_add_i32 s9, s8, 1
	s_cmp_ge_u32 s12, s18
	s_cselect_b32 s20, s9, s8
.LBB0_2:
	s_load_dwordx2 s[8:9], s[4:5], 0x10
	s_load_dwordx2 s[12:13], s[6:7], 0x8
	s_mov_b64 s[4:5], s[20:21]
	s_waitcnt lgkmcnt(0)
	v_mov_b64_e32 v[2:3], s[8:9]
	v_cmp_lt_u64_e32 vcc, s[20:21], v[2:3]
	s_cbranch_vccnz .LBB0_4
; %bb.3:
	v_cvt_f32_u32_e32 v1, s8
	s_sub_i32 s4, 0, s8
	v_rcp_iflag_f32_e32 v1, v1
	s_nop 0
	v_mul_f32_e32 v1, 0x4f7ffffe, v1
	v_cvt_u32_f32_e32 v1, v1
	s_nop 0
	v_readfirstlane_b32 s5, v1
	s_mul_i32 s4, s4, s5
	s_mul_hi_u32 s4, s5, s4
	s_add_i32 s5, s5, s4
	s_mul_hi_u32 s4, s20, s5
	s_mul_i32 s4, s4, s8
	s_sub_i32 s4, s20, s4
	s_sub_i32 s5, s4, s8
	s_cmp_ge_u32 s4, s8
	s_cselect_b32 s4, s5, s4
	s_sub_i32 s5, s4, s8
	s_cmp_ge_u32 s4, s8
	s_cselect_b32 s4, s5, s4
.LBB0_4:
	s_mul_i32 s5, s8, s19
	s_mul_hi_u32 s16, s8, s18
	s_add_i32 s5, s16, s5
	s_mul_i32 s9, s9, s18
	s_load_dwordx2 s[14:15], s[0:1], 0x50
	s_add_i32 s17, s5, s9
	s_mul_i32 s16, s8, s18
	s_load_dwordx2 s[8:9], s[6:7], 0x0
	s_load_dwordx2 s[22:23], s[6:7], 0x10
	v_mov_b64_e32 v[2:3], s[16:17]
	v_cmp_lt_u64_e32 vcc, s[2:3], v[2:3]
	s_mov_b64 s[24:25], 0
	s_cbranch_vccnz .LBB0_6
; %bb.5:
	v_cvt_f32_u32_e32 v1, s16
	s_sub_i32 s3, 0, s16
	v_rcp_iflag_f32_e32 v1, v1
	s_nop 0
	v_mul_f32_e32 v1, 0x4f7ffffe, v1
	v_cvt_u32_f32_e32 v1, v1
	s_nop 0
	v_readfirstlane_b32 s5, v1
	s_mul_i32 s3, s3, s5
	s_mul_hi_u32 s3, s5, s3
	s_add_i32 s5, s5, s3
	s_mul_hi_u32 s3, s2, s5
	s_mul_i32 s17, s3, s16
	s_sub_i32 s17, s2, s17
	s_add_i32 s5, s3, 1
	s_sub_i32 s21, s17, s16
	s_cmp_ge_u32 s17, s16
	s_cselect_b32 s3, s5, s3
	s_cselect_b32 s17, s21, s17
	s_add_i32 s5, s3, 1
	s_cmp_ge_u32 s17, s16
	s_cselect_b32 s24, s5, s3
.LBB0_6:
	s_mul_i32 s3, s20, s19
	s_mul_hi_u32 s5, s20, s18
	s_add_i32 s5, s5, s3
	s_mul_i32 s3, s20, s18
	s_sub_u32 s18, s2, s3
	s_subb_u32 s2, 0, s5
	s_mul_i32 s5, s2, 24
	s_mul_hi_u32 s2, s18, 24
	s_add_i32 s19, s2, s5
	s_mul_i32 s20, s18, 24
	s_mul_i32 s2, s12, s19
	s_mul_hi_u32 s3, s12, s20
	s_add_i32 s2, s3, s2
	s_mul_i32 s3, s13, s20
	s_add_i32 s21, s2, s3
	s_load_dwordx2 s[2:3], s[6:7], 0x18
	s_waitcnt lgkmcnt(0)
	s_mul_i32 s23, s23, s4
	s_mul_hi_u32 s26, s22, s4
	s_mul_i32 s25, s12, s20
	s_add_i32 s26, s26, s23
	s_mul_i32 s4, s22, s4
	s_add_u32 s4, s4, s25
	s_mul_i32 s3, s3, s24
	s_mul_hi_u32 s6, s2, s24
	v_mul_u32_u24_e32 v1, 0xaab, v0
	s_addc_u32 s7, s26, s21
	s_add_i32 s3, s6, s3
	s_mul_i32 s2, s2, s24
	v_lshrrev_b32_e32 v102, 16, v1
	s_add_u32 s6, s2, s4
	v_mul_lo_u16_e32 v1, 24, v102
	s_load_dwordx2 s[16:17], s[0:1], 0x0
	s_addc_u32 s7, s3, s7
	v_sub_u16_e32 v18, v0, v1
	v_mov_b32_e32 v19, 0
	v_mad_u64_u32 v[20:21], s[2:3], s18, 24, v[18:19]
	s_add_u32 s4, s20, 24
	v_add_u32_e32 v21, s5, v21
	s_addc_u32 s5, s19, 0
	v_mov_b64_e32 v[2:3], s[10:11]
	v_cmp_gt_u64_e32 vcc, s[4:5], v[2:3]
	v_cmp_le_u64_e64 s[2:3], s[4:5], v[2:3]
	s_and_b64 vcc, exec, vcc
	v_add_u32_e32 v30, 24, v102
	v_add_u32_e32 v32, 8, v102
	v_or_b32_e32 v19, 32, v102
	v_or_b32_e32 v33, 16, v102
	s_cbranch_vccnz .LBB0_8
; %bb.7:
	v_mad_u64_u32 v[2:3], s[4:5], s12, v18, 0
	v_mov_b32_e32 v4, v3
	v_mad_u64_u32 v[4:5], s[4:5], s13, v18, v[4:5]
	v_mov_b32_e32 v3, v4
	;; [unrolled: 2-line block ×3, first 2 shown]
	v_mad_u64_u32 v[6:7], s[4:5], s9, v102, v[6:7]
	s_lshl_b64 s[4:5], s[6:7], 3
	s_add_u32 s4, s14, s4
	s_addc_u32 s5, s15, s5
	v_add_u32_e32 v1, 24, v102
	v_mov_b32_e32 v5, v6
	v_lshl_add_u64 v[22:23], v[2:3], 3, s[4:5]
	v_mad_u64_u32 v[2:3], s[4:5], s8, v1, 0
	v_lshl_add_u64 v[10:11], v[4:5], 3, v[22:23]
	v_mov_b32_e32 v4, v3
	v_mad_u64_u32 v[4:5], s[4:5], s9, v1, v[4:5]
	v_mov_b32_e32 v3, v4
	v_or_b32_e32 v5, 48, v102
	v_lshl_add_u64 v[12:13], v[2:3], 3, v[22:23]
	v_mad_u64_u32 v[2:3], s[4:5], s8, v5, 0
	v_mov_b32_e32 v4, v3
	v_mad_u64_u32 v[4:5], s[4:5], s9, v5, v[4:5]
	v_mov_b32_e32 v3, v4
	v_add_u32_e32 v5, 0x48, v102
	v_lshl_add_u64 v[14:15], v[2:3], 3, v[22:23]
	v_mad_u64_u32 v[2:3], s[4:5], s8, v5, 0
	v_mov_b32_e32 v4, v3
	v_mad_u64_u32 v[4:5], s[4:5], s9, v5, v[4:5]
	v_mov_b32_e32 v3, v4
	v_add_u32_e32 v67, 8, v102
	v_lshl_add_u64 v[16:17], v[2:3], 3, v[22:23]
	global_load_dwordx2 v[4:5], v[10:11], off
	global_load_dwordx2 v[2:3], v[12:13], off
	;; [unrolled: 1-line block ×4, first 2 shown]
	v_mad_u64_u32 v[10:11], s[4:5], s8, v67, 0
	v_mov_b32_e32 v12, v11
	v_mad_u64_u32 v[12:13], s[4:5], s9, v67, v[12:13]
	v_mov_b32_e32 v11, v12
	v_lshl_add_u64 v[24:25], v[10:11], 3, v[22:23]
	v_mad_u64_u32 v[10:11], s[4:5], s8, v19, 0
	v_mov_b32_e32 v12, v11
	v_mad_u64_u32 v[12:13], s[4:5], s9, v19, v[12:13]
	v_mov_b32_e32 v11, v12
	v_add_u32_e32 v13, 56, v102
	v_lshl_add_u64 v[26:27], v[10:11], 3, v[22:23]
	v_mad_u64_u32 v[10:11], s[4:5], s8, v13, 0
	v_mov_b32_e32 v12, v11
	v_mad_u64_u32 v[12:13], s[4:5], s9, v13, v[12:13]
	v_mov_b32_e32 v11, v12
	v_or_b32_e32 v13, 0x50, v102
	v_lshl_add_u64 v[28:29], v[10:11], 3, v[22:23]
	v_mad_u64_u32 v[10:11], s[4:5], s8, v13, 0
	v_mov_b32_e32 v12, v11
	v_mad_u64_u32 v[12:13], s[4:5], s9, v13, v[12:13]
	v_mov_b32_e32 v11, v12
	v_or_b32_e32 v31, 16, v102
	v_lshl_add_u64 v[34:35], v[10:11], 3, v[22:23]
	global_load_dwordx2 v[12:13], v[24:25], off
	global_load_dwordx2 v[10:11], v[26:27], off
	;; [unrolled: 1-line block ×4, first 2 shown]
	v_mad_u64_u32 v[24:25], s[4:5], s8, v31, 0
	v_mov_b32_e32 v26, v25
	v_mad_u64_u32 v[26:27], s[4:5], s9, v31, v[26:27]
	v_mov_b32_e32 v25, v26
	v_add_u32_e32 v27, 40, v102
	v_lshl_add_u64 v[34:35], v[24:25], 3, v[22:23]
	v_mad_u64_u32 v[24:25], s[4:5], s8, v27, 0
	v_mov_b32_e32 v26, v25
	v_mad_u64_u32 v[26:27], s[4:5], s9, v27, v[26:27]
	v_mov_b32_e32 v25, v26
	v_or_b32_e32 v27, 64, v102
	v_lshl_add_u64 v[36:37], v[24:25], 3, v[22:23]
	v_mad_u64_u32 v[24:25], s[4:5], s8, v27, 0
	v_mov_b32_e32 v26, v25
	v_mad_u64_u32 v[26:27], s[4:5], s9, v27, v[26:27]
	v_mov_b32_e32 v25, v26
	v_add_u32_e32 v27, 0x58, v102
	v_lshl_add_u64 v[38:39], v[24:25], 3, v[22:23]
	v_mad_u64_u32 v[24:25], s[4:5], s8, v27, 0
	v_mov_b32_e32 v26, v25
	v_mad_u64_u32 v[26:27], s[4:5], s9, v27, v[26:27]
	v_mov_b32_e32 v25, v26
	v_lshl_add_u64 v[40:41], v[24:25], 3, v[22:23]
	global_load_dwordx2 v[24:25], v[34:35], off
	global_load_dwordx2 v[22:23], v[36:37], off
	;; [unrolled: 1-line block ×4, first 2 shown]
	s_cbranch_execz .LBB0_9
	s_branch .LBB0_14
.LBB0_8:
                                        ; implicit-def: $vgpr7
                                        ; implicit-def: $vgpr3
                                        ; implicit-def: $vgpr9
                                        ; implicit-def: $vgpr5
                                        ; implicit-def: $vgpr15
                                        ; implicit-def: $vgpr11
                                        ; implicit-def: $vgpr17
                                        ; implicit-def: $vgpr13
                                        ; implicit-def: $vgpr27
                                        ; implicit-def: $vgpr23
                                        ; implicit-def: $vgpr29
                                        ; implicit-def: $vgpr25
                                        ; implicit-def: $vgpr67
                                        ; implicit-def: $vgpr31
                                        ; implicit-def: $vgpr1
.LBB0_9:
	v_cmp_le_u64_e32 vcc, s[10:11], v[20:21]
                                        ; implicit-def: $vgpr67
                                        ; implicit-def: $vgpr31
                                        ; implicit-def: $vgpr1
	s_and_saveexec_b64 s[4:5], vcc
	s_xor_b64 s[4:5], exec, s[4:5]
; %bb.10:
	v_add_u32_e32 v67, 8, v102
	v_or_b32_e32 v31, 16, v102
	v_add_u32_e32 v1, 24, v102
                                        ; implicit-def: $vgpr30
                                        ; implicit-def: $vgpr32
                                        ; implicit-def: $vgpr33
; %bb.11:
	s_or_saveexec_b64 s[4:5], s[4:5]
                                        ; implicit-def: $vgpr7
                                        ; implicit-def: $vgpr3
                                        ; implicit-def: $vgpr9
                                        ; implicit-def: $vgpr5
                                        ; implicit-def: $vgpr15
                                        ; implicit-def: $vgpr11
                                        ; implicit-def: $vgpr17
                                        ; implicit-def: $vgpr13
                                        ; implicit-def: $vgpr27
                                        ; implicit-def: $vgpr23
                                        ; implicit-def: $vgpr29
                                        ; implicit-def: $vgpr25
	s_xor_b64 exec, exec, s[4:5]
	s_cbranch_execz .LBB0_13
; %bb.12:
	s_waitcnt vmcnt(10)
	v_mad_u64_u32 v[2:3], s[18:19], s12, v18, 0
	v_mov_b32_e32 v4, v3
	v_mad_u64_u32 v[4:5], s[18:19], s13, v18, v[4:5]
	v_mov_b32_e32 v3, v4
	v_mad_u64_u32 v[4:5], s[18:19], s8, v102, 0
	s_waitcnt vmcnt(8)
	v_mov_b32_e32 v6, v5
	v_mad_u64_u32 v[6:7], s[18:19], s9, v102, v[6:7]
	s_lshl_b64 s[18:19], s[6:7], 3
	s_add_u32 s18, s14, s18
	s_addc_u32 s19, s15, s19
	v_mov_b32_e32 v5, v6
	s_waitcnt vmcnt(2)
	v_lshl_add_u64 v[22:23], v[2:3], 3, s[18:19]
	v_mad_u64_u32 v[2:3], s[18:19], s8, v30, 0
	v_lshl_add_u64 v[10:11], v[4:5], 3, v[22:23]
	v_mov_b32_e32 v4, v3
	v_mad_u64_u32 v[4:5], s[18:19], s9, v30, v[4:5]
	v_mov_b32_e32 v3, v4
	v_or_b32_e32 v1, 48, v102
	v_lshl_add_u64 v[12:13], v[2:3], 3, v[22:23]
	v_mad_u64_u32 v[2:3], s[18:19], s8, v1, 0
	v_mov_b32_e32 v4, v3
	v_mad_u64_u32 v[4:5], s[18:19], s9, v1, v[4:5]
	v_mov_b32_e32 v3, v4
	v_add_u32_e32 v1, 0x48, v102
	v_lshl_add_u64 v[14:15], v[2:3], 3, v[22:23]
	v_mad_u64_u32 v[2:3], s[18:19], s8, v1, 0
	v_mov_b32_e32 v4, v3
	v_mad_u64_u32 v[4:5], s[18:19], s9, v1, v[4:5]
	v_mov_b32_e32 v3, v4
	v_lshl_add_u64 v[16:17], v[2:3], 3, v[22:23]
	global_load_dwordx2 v[4:5], v[10:11], off
	global_load_dwordx2 v[2:3], v[12:13], off
	;; [unrolled: 1-line block ×4, first 2 shown]
	v_mad_u64_u32 v[10:11], s[18:19], s8, v32, 0
	v_mov_b32_e32 v12, v11
	v_mad_u64_u32 v[12:13], s[18:19], s9, v32, v[12:13]
	v_mov_b32_e32 v11, v12
	v_lshl_add_u64 v[24:25], v[10:11], 3, v[22:23]
	v_mad_u64_u32 v[10:11], s[18:19], s8, v19, 0
	v_mov_b32_e32 v12, v11
	v_mad_u64_u32 v[12:13], s[18:19], s9, v19, v[12:13]
	v_mov_b32_e32 v11, v12
	v_add_u32_e32 v1, 56, v102
	s_waitcnt vmcnt(4)
	v_lshl_add_u64 v[26:27], v[10:11], 3, v[22:23]
	v_mad_u64_u32 v[10:11], s[18:19], s8, v1, 0
	v_mov_b32_e32 v12, v11
	v_mad_u64_u32 v[12:13], s[18:19], s9, v1, v[12:13]
	v_mov_b32_e32 v11, v12
	v_or_b32_e32 v1, 0x50, v102
	v_lshl_add_u64 v[28:29], v[10:11], 3, v[22:23]
	v_mad_u64_u32 v[10:11], s[18:19], s8, v1, 0
	v_mov_b32_e32 v12, v11
	v_mad_u64_u32 v[12:13], s[18:19], s9, v1, v[12:13]
	v_mov_b32_e32 v11, v12
	v_lshl_add_u64 v[34:35], v[10:11], 3, v[22:23]
	global_load_dwordx2 v[12:13], v[24:25], off
	global_load_dwordx2 v[10:11], v[26:27], off
	;; [unrolled: 1-line block ×4, first 2 shown]
	v_mad_u64_u32 v[24:25], s[18:19], s8, v33, 0
	v_mov_b32_e32 v26, v25
	v_mad_u64_u32 v[26:27], s[18:19], s9, v33, v[26:27]
	v_mov_b32_e32 v25, v26
	v_add_u32_e32 v1, 40, v102
	v_lshl_add_u64 v[34:35], v[24:25], 3, v[22:23]
	v_mad_u64_u32 v[24:25], s[18:19], s8, v1, 0
	v_mov_b32_e32 v26, v25
	v_mad_u64_u32 v[26:27], s[18:19], s9, v1, v[26:27]
	v_mov_b32_e32 v25, v26
	v_or_b32_e32 v1, 64, v102
	v_lshl_add_u64 v[36:37], v[24:25], 3, v[22:23]
	v_mad_u64_u32 v[24:25], s[18:19], s8, v1, 0
	v_mov_b32_e32 v26, v25
	v_mad_u64_u32 v[26:27], s[18:19], s9, v1, v[26:27]
	v_mov_b32_e32 v25, v26
	v_add_u32_e32 v1, 0x58, v102
	v_lshl_add_u64 v[38:39], v[24:25], 3, v[22:23]
	v_mad_u64_u32 v[24:25], s[18:19], s8, v1, 0
	v_mov_b32_e32 v26, v25
	v_mad_u64_u32 v[26:27], s[18:19], s9, v1, v[26:27]
	v_mov_b32_e32 v25, v26
	v_lshl_add_u64 v[40:41], v[24:25], 3, v[22:23]
	global_load_dwordx2 v[24:25], v[34:35], off
	global_load_dwordx2 v[22:23], v[36:37], off
	;; [unrolled: 1-line block ×4, first 2 shown]
	v_mov_b32_e32 v67, v32
	v_mov_b32_e32 v31, v33
	v_mov_b32_e32 v1, v30
.LBB0_13:
	s_or_b64 exec, exec, s[4:5]
.LBB0_14:
	s_waitcnt vmcnt(9)
	v_pk_add_f32 v[8:9], v[4:5], v[8:9] neg_lo:[0,1] neg_hi:[0,1]
	s_waitcnt vmcnt(8)
	v_pk_add_f32 v[6:7], v[2:3], v[6:7] neg_lo:[0,1] neg_hi:[0,1]
	v_mul_u32_u24_e32 v30, 0x60, v102
	v_pk_fma_f32 v[4:5], v[4:5], 2.0, v[8:9] op_sel_hi:[1,0,1] neg_lo:[0,0,1] neg_hi:[0,0,1]
	v_pk_fma_f32 v[2:3], v[2:3], 2.0, v[6:7] op_sel_hi:[1,0,1] neg_lo:[0,0,1] neg_hi:[0,0,1]
	v_pk_add_f32 v[32:33], v[8:9], v[6:7] op_sel:[0,1] op_sel_hi:[1,0] neg_lo:[0,1] neg_hi:[0,1]
	v_pk_add_f32 v[6:7], v[8:9], v[6:7] op_sel:[0,1] op_sel_hi:[1,0]
	v_lshlrev_b32_e32 v30, 3, v30
	v_lshlrev_b32_e32 v44, 3, v18
	v_pk_add_f32 v[2:3], v[4:5], v[2:3] neg_lo:[0,1] neg_hi:[0,1]
	v_mov_b32_e32 v33, v7
	v_add3_u32 v30, 0, v30, v44
	v_pk_fma_f32 v[4:5], v[4:5], 2.0, v[2:3] op_sel_hi:[1,0,1] neg_lo:[0,0,1] neg_hi:[0,0,1]
	v_pk_fma_f32 v[6:7], v[8:9], 2.0, v[32:33] op_sel_hi:[1,0,1] neg_lo:[0,0,1] neg_hi:[0,0,1]
	ds_write2_b64 v30, v[4:5], v[6:7] offset1:24
	ds_write2_b64 v30, v[2:3], v[32:33] offset0:48 offset1:72
	v_mul_i32_i24_e32 v2, 0x60, v67
	s_waitcnt vmcnt(5)
	v_pk_add_f32 v[16:17], v[12:13], v[16:17] neg_lo:[0,1] neg_hi:[0,1]
	s_waitcnt vmcnt(4)
	v_pk_add_f32 v[14:15], v[10:11], v[14:15] neg_lo:[0,1] neg_hi:[0,1]
	v_lshlrev_b32_e32 v2, 3, v2
	v_add3_u32 v32, 0, v2, v44
	v_pk_fma_f32 v[2:3], v[12:13], 2.0, v[16:17] op_sel_hi:[1,0,1] neg_lo:[0,0,1] neg_hi:[0,0,1]
	v_pk_fma_f32 v[4:5], v[10:11], 2.0, v[14:15] op_sel_hi:[1,0,1] neg_lo:[0,0,1] neg_hi:[0,0,1]
	v_pk_add_f32 v[6:7], v[16:17], v[14:15] op_sel:[0,1] op_sel_hi:[1,0] neg_lo:[0,1] neg_hi:[0,1]
	v_pk_add_f32 v[8:9], v[16:17], v[14:15] op_sel:[0,1] op_sel_hi:[1,0]
	v_pk_add_f32 v[4:5], v[2:3], v[4:5] neg_lo:[0,1] neg_hi:[0,1]
	v_mov_b32_e32 v7, v9
	v_pk_fma_f32 v[2:3], v[2:3], 2.0, v[4:5] op_sel_hi:[1,0,1] neg_lo:[0,0,1] neg_hi:[0,0,1]
	v_pk_fma_f32 v[8:9], v[16:17], 2.0, v[6:7] op_sel_hi:[1,0,1] neg_lo:[0,0,1] neg_hi:[0,0,1]
	ds_write2_b64 v32, v[2:3], v[8:9] offset1:24
	ds_write2_b64 v32, v[4:5], v[6:7] offset0:48 offset1:72
	v_mul_i32_i24_e32 v2, 0x60, v31
	s_waitcnt vmcnt(1)
	v_pk_add_f32 v[28:29], v[24:25], v[28:29] neg_lo:[0,1] neg_hi:[0,1]
	s_waitcnt vmcnt(0)
	v_pk_add_f32 v[26:27], v[22:23], v[26:27] neg_lo:[0,1] neg_hi:[0,1]
	v_lshlrev_b32_e32 v2, 3, v2
	v_add3_u32 v10, 0, v2, v44
	v_pk_fma_f32 v[2:3], v[24:25], 2.0, v[28:29] op_sel_hi:[1,0,1] neg_lo:[0,0,1] neg_hi:[0,0,1]
	v_pk_fma_f32 v[4:5], v[22:23], 2.0, v[26:27] op_sel_hi:[1,0,1] neg_lo:[0,0,1] neg_hi:[0,0,1]
	v_pk_add_f32 v[6:7], v[28:29], v[26:27] op_sel:[0,1] op_sel_hi:[1,0] neg_lo:[0,1] neg_hi:[0,1]
	v_pk_add_f32 v[8:9], v[28:29], v[26:27] op_sel:[0,1] op_sel_hi:[1,0]
	v_pk_add_f32 v[4:5], v[2:3], v[4:5] neg_lo:[0,1] neg_hi:[0,1]
	v_mov_b32_e32 v7, v9
	v_pk_fma_f32 v[2:3], v[2:3], 2.0, v[4:5] op_sel_hi:[1,0,1] neg_lo:[0,0,1] neg_hi:[0,0,1]
	v_pk_fma_f32 v[8:9], v[28:29], 2.0, v[6:7] op_sel_hi:[1,0,1] neg_lo:[0,0,1] neg_hi:[0,0,1]
	v_and_b32_e32 v45, 3, v102
	ds_write2_b64 v10, v[2:3], v[8:9] offset1:24
	ds_write2_b64 v10, v[4:5], v[6:7] offset0:48 offset1:72
	v_lshlrev_b32_e32 v2, 4, v45
	s_waitcnt lgkmcnt(0)
	s_barrier
	global_load_dwordx4 v[2:5], v2, s[16:17]
	v_mul_i32_i24_e32 v6, 0xc0, v1
	v_lshrrev_b32_e32 v7, 2, v102
	v_lshrrev_b32_e32 v8, 2, v67
	s_movk_i32 s4, 0xfdc0
	v_add3_u32 v50, 0, v6, v44
	v_mul_u32_u24_e32 v6, 12, v7
	v_mul_lo_u32 v7, v8, 12
	s_movk_i32 s5, 0xc0
	v_or_b32_e32 v8, v6, v45
	v_or_b32_e32 v9, v7, v45
	v_mad_i32_i24 v6, v102, s4, v30
	v_mad_i32_i24 v7, v67, s4, v32
	v_mad_i32_i24 v22, v31, s4, v10
	v_mul_u32_u24_e32 v23, 0xc0, v8
	v_mul_lo_u32 v46, v9, s5
	ds_read2st64_b64 v[8:11], v6 offset1:12
	ds_read2st64_b64 v[12:15], v6 offset0:21 offset1:24
	ds_read2st64_b64 v[26:29], v6 offset0:15 offset1:18
	;; [unrolled: 1-line block ×3, first 2 shown]
	ds_read_b64 v[16:17], v6 offset:16896
	v_add3_u32 v47, 0, v23, v44
	ds_read_b64 v[36:37], v50
	ds_read_b64 v[22:23], v22
	;; [unrolled: 1-line block ×3, first 2 shown]
	s_mov_b32 s4, 0x3f5db3d7
	v_add3_u32 v46, 0, v46, v44
	s_waitcnt lgkmcnt(3)
	v_mov_b32_e32 v24, v17
	s_waitcnt lgkmcnt(0)
	s_barrier
	v_lshrrev_b32_e32 v1, 2, v1
	v_mul_lo_u32 v1, v1, 12
	v_or_b32_e32 v1, v1, v45
	v_mul_lo_u32 v1, v1, s5
	v_add3_u32 v1, 0, v1, v44
	s_waitcnt vmcnt(0)
	v_mul_f32_e32 v25, v5, v35
	v_pk_mul_f32 v[42:43], v[16:17], v[4:5]
	v_mul_f32_e32 v39, v5, v34
	v_mov_b32_e32 v30, v5
	v_fma_f32 v38, v4, v34, -v25
	v_mov_b32_e32 v34, v43
	v_pk_mul_f32 v[42:43], v[16:17], v[30:31]
	v_pk_fma_f32 v[16:17], v[16:17], v[4:5], v[34:35] neg_lo:[0,0,1] neg_hi:[0,0,1]
	v_fmac_f32_e32 v39, v4, v35
	v_lshrrev_b32_e32 v17, 2, v31
	v_mul_lo_u32 v17, v17, 12
	v_or_b32_e32 v17, v17, v45
	v_mul_lo_u32 v17, v17, s5
	v_add3_u32 v48, 0, v17, v44
	v_mul_f32_e32 v17, v3, v29
	v_mul_f32_e32 v31, v3, v28
	v_fma_f32 v30, v2, v28, -v17
	v_fmac_f32_e32 v31, v2, v29
	v_pk_mul_f32 v[28:29], v[2:3], v[12:13] op_sel:[0,1]
	v_pk_fma_f32 v[24:25], v[24:25], v[4:5], v[42:43]
	v_pk_fma_f32 v[34:35], v[2:3], v[12:13], v[28:29] op_sel:[0,0,1] op_sel_hi:[1,1,0] neg_lo:[0,0,1] neg_hi:[0,0,1]
	v_pk_fma_f32 v[12:13], v[2:3], v[12:13], v[28:29] op_sel:[0,0,1] op_sel_hi:[1,0,0]
	v_pk_add_f32 v[28:29], v[30:31], v[38:39]
	v_pk_add_f32 v[42:43], v[30:31], v[38:39] neg_lo:[0,1] neg_hi:[0,1]
	v_mov_b32_e32 v35, v13
	v_add_f32_e32 v12, v22, v30
	v_pk_fma_f32 v[28:29], v[28:29], 0.5, v[22:23] op_sel_hi:[1,0,1] neg_lo:[1,0,0] neg_hi:[1,0,0]
	v_pk_mul_f32 v[42:43], v[42:43], s[4:5] op_sel_hi:[1,0]
	v_add_f32_e32 v13, v23, v31
	v_add_f32_e32 v12, v12, v38
	v_add_f32_e32 v13, v13, v39
	v_pk_add_f32 v[22:23], v[28:29], v[42:43] op_sel:[0,1] op_sel_hi:[1,0] neg_lo:[0,1] neg_hi:[0,1]
	v_pk_add_f32 v[38:39], v[28:29], v[42:43] op_sel:[0,1] op_sel_hi:[1,0]
	v_pk_add_f32 v[28:29], v[36:37], v[34:35]
	v_mov_b32_e32 v17, v24
	v_pk_add_f32 v[24:25], v[28:29], v[16:17]
	v_pk_mul_f32 v[28:29], v[4:5], v[32:33] op_sel:[0,1]
	s_nop 0
	v_pk_fma_f32 v[30:31], v[4:5], v[32:33], v[28:29] op_sel:[0,0,1] op_sel_hi:[1,1,0] neg_lo:[0,0,1] neg_hi:[0,0,1]
	v_pk_fma_f32 v[28:29], v[4:5], v[32:33], v[28:29] op_sel:[0,0,1] op_sel_hi:[1,0,0]
	s_nop 0
	v_mov_b32_e32 v31, v29
	v_pk_mul_f32 v[28:29], v[2:3], v[26:27] op_sel:[0,1]
	s_nop 0
	v_pk_fma_f32 v[32:33], v[2:3], v[26:27], v[28:29] op_sel:[0,0,1] op_sel_hi:[1,1,0] neg_lo:[0,0,1] neg_hi:[0,0,1]
	v_pk_fma_f32 v[26:27], v[2:3], v[26:27], v[28:29] op_sel:[0,0,1] op_sel_hi:[1,0,0]
	s_nop 0
	v_mov_b32_e32 v33, v27
	v_pk_add_f32 v[26:27], v[40:41], v[32:33]
	v_pk_add_f32 v[28:29], v[32:33], v[30:31]
	;; [unrolled: 1-line block ×3, first 2 shown]
	v_pk_add_f32 v[30:31], v[32:33], v[30:31] neg_lo:[0,1] neg_hi:[0,1]
	v_pk_fma_f32 v[28:29], v[28:29], 0.5, v[40:41] op_sel_hi:[1,0,1] neg_lo:[1,0,0] neg_hi:[1,0,0]
	v_pk_mul_f32 v[30:31], v[30:31], s[4:5] op_sel_hi:[1,0]
	s_nop 0
	v_pk_add_f32 v[32:33], v[28:29], v[30:31] op_sel:[0,1] op_sel_hi:[1,0]
	v_pk_add_f32 v[28:29], v[28:29], v[30:31] op_sel:[0,1] op_sel_hi:[1,0] neg_lo:[0,1] neg_hi:[0,1]
	v_pk_mul_f32 v[30:31], v[4:5], v[14:15] op_sel:[0,1]
	s_nop 0
	v_pk_fma_f32 v[40:41], v[4:5], v[14:15], v[30:31] op_sel:[0,0,1] op_sel_hi:[1,1,0] neg_lo:[0,0,1] neg_hi:[0,0,1]
	v_pk_fma_f32 v[4:5], v[4:5], v[14:15], v[30:31] op_sel:[0,0,1] op_sel_hi:[1,0,0]
                                        ; implicit-def: $vgpr31
	s_nop 0
	v_mov_b32_e32 v41, v5
	v_pk_mul_f32 v[4:5], v[2:3], v[10:11] op_sel:[0,1]
	s_nop 0
	v_pk_fma_f32 v[14:15], v[2:3], v[10:11], v[4:5] op_sel:[0,0,1] op_sel_hi:[1,1,0] neg_lo:[0,0,1] neg_hi:[0,0,1]
	v_pk_fma_f32 v[2:3], v[2:3], v[10:11], v[4:5] op_sel:[0,0,1] op_sel_hi:[1,0,0]
	s_nop 0
	v_mov_b32_e32 v15, v3
	v_pk_add_f32 v[4:5], v[14:15], v[40:41]
	v_pk_add_f32 v[2:3], v[8:9], v[14:15]
	v_pk_fma_f32 v[4:5], v[4:5], 0.5, v[8:9] op_sel_hi:[1,0,1] neg_lo:[1,0,0] neg_hi:[1,0,0]
	v_pk_add_f32 v[8:9], v[14:15], v[40:41] neg_lo:[0,1] neg_hi:[0,1]
	v_pk_add_f32 v[2:3], v[2:3], v[40:41]
	v_pk_mul_f32 v[8:9], v[8:9], s[4:5] op_sel_hi:[1,0]
	s_nop 0
	v_pk_add_f32 v[10:11], v[4:5], v[8:9] op_sel:[0,1] op_sel_hi:[1,0]
	v_pk_add_f32 v[4:5], v[4:5], v[8:9] op_sel:[0,1] op_sel_hi:[1,0] neg_lo:[0,1] neg_hi:[0,1]
	v_mov_b32_e32 v8, v10
	v_mov_b32_e32 v9, v5
	ds_write2_b64 v47, v[2:3], v[8:9] offset1:96
	v_mov_b32_e32 v5, v11
	v_mov_b32_e32 v2, v32
	v_mov_b32_e32 v3, v29
	ds_write_b64 v47, v[4:5] offset:1536
	ds_write2_b64 v46, v[26:27], v[2:3] offset1:96
	v_mov_b32_e32 v29, v33
	v_mov_b32_e32 v2, v38
	;; [unrolled: 1-line block ×3, first 2 shown]
	ds_write_b64 v46, v[28:29] offset:1536
	ds_write2_b64 v48, v[12:13], v[2:3] offset1:96
	v_pk_add_f32 v[2:3], v[34:35], v[16:17]
	v_pk_add_f32 v[4:5], v[34:35], v[16:17] neg_lo:[0,1] neg_hi:[0,1]
	v_pk_fma_f32 v[2:3], v[2:3], 0.5, v[36:37] op_sel_hi:[1,0,1] neg_lo:[1,0,0] neg_hi:[1,0,0]
	v_pk_mul_f32 v[4:5], v[4:5], s[4:5] op_sel_hi:[1,0]
	v_mov_b32_e32 v23, v39
	v_pk_add_f32 v[28:29], v[2:3], v[4:5] op_sel:[0,1] op_sel_hi:[1,0]
	v_pk_add_f32 v[26:27], v[2:3], v[4:5] op_sel:[0,1] op_sel_hi:[1,0] neg_lo:[0,1] neg_hi:[0,1]
	v_mov_b32_e32 v2, v28
	v_mov_b32_e32 v3, v27
	ds_write_b64 v48, v[22:23] offset:1536
	ds_write2_b64 v1, v[24:25], v[2:3] offset1:96
	v_mov_b32_e32 v2, v26
	v_mov_b32_e32 v3, v29
	ds_write_b64 v1, v[2:3] offset:1536
	v_add_u32_e32 v1, 0x100, v6
	s_waitcnt lgkmcnt(0)
	s_barrier
	ds_read2st64_b64 v[2:5], v1 offset0:4 offset1:13
	ds_read_b64 v[40:41], v6
	ds_read_b64 v[48:49], v6 offset:9216
	ds_read_b64 v[46:47], v6 offset:11520
	;; [unrolled: 1-line block ×3, first 2 shown]
	ds_read_b64 v[50:51], v50
	ds_read_b64 v[42:43], v6 offset:16128
	s_movk_i32 s4, 0x60
	v_cmp_gt_u32_e64 s[4:5], s4, v0
                                        ; implicit-def: $vgpr37
                                        ; implicit-def: $vgpr35
                                        ; implicit-def: $vgpr33
	s_and_saveexec_b64 s[18:19], s[4:5]
	s_cbranch_execz .LBB0_16
; %bb.15:
	ds_read_b64 v[24:25], v6 offset:3840
	ds_read_b64 v[26:27], v6 offset:6144
	;; [unrolled: 1-line block ×6, first 2 shown]
	ds_read_b64 v[22:23], v7
	ds_read_b64 v[30:31], v6 offset:17664
	s_waitcnt lgkmcnt(6)
	v_mov_b32_e32 v28, v26
	s_waitcnt lgkmcnt(5)
	v_mov_b32_e32 v29, v1
	v_mov_b32_e32 v26, v0
	s_waitcnt lgkmcnt(1)
	v_mov_b32_e32 v39, v23
.LBB0_16:
	s_or_b64 exec, exec, s[18:19]
	v_mul_lo_u16_e32 v0, 22, v102
	v_mov_b32_e32 v1, 12
	v_mul_lo_u16_sdwa v0, v0, v1 dst_sel:DWORD dst_unused:UNUSED_PAD src0_sel:BYTE_1 src1_sel:DWORD
	v_sub_u16_e32 v0, v102, v0
	v_and_b32_e32 v23, 0xff, v0
	v_mul_u32_u24_e32 v0, 7, v23
	v_lshlrev_b32_e32 v70, 3, v0
	global_load_dwordx4 v[14:17], v70, s[16:17] offset:64
	global_load_dwordx4 v[10:13], v70, s[16:17] offset:80
	;; [unrolled: 1-line block ×3, first 2 shown]
	s_load_dwordx2 s[0:1], s[0:1], 0x8
	v_mov_b32_e32 v76, 3
	v_mul_lo_u32 v0, v20, v23
	v_lshlrev_b32_sdwa v52, v76, v0 dst_sel:DWORD dst_unused:UNUSED_PAD src0_sel:DWORD src1_sel:BYTE_0
	v_lshlrev_b32_sdwa v53, v76, v0 dst_sel:DWORD dst_unused:UNUSED_PAD src0_sel:DWORD src1_sel:BYTE_1
	s_waitcnt lgkmcnt(0)
	global_load_dwordx2 v[62:63], v52, s[0:1]
	global_load_dwordx2 v[68:69], v53, s[0:1] offset:2048
	v_add_u32_e32 v105, 12, v23
	v_add_u32_e32 v104, 24, v23
	;; [unrolled: 1-line block ×3, first 2 shown]
	v_or_b32_e32 v1, 48, v23
	v_add_u32_e32 v106, 60, v23
	v_mul_lo_u32 v54, v20, v105
	v_mov_b32_e32 v77, 0x1000
	v_bfe_u32 v0, v0, 16, 8
	v_mul_lo_u32 v55, v20, v104
	v_mul_lo_u32 v56, v20, v103
	v_mul_lo_u32 v60, v20, v1
	v_mul_lo_u32 v71, v20, v106
	v_lshlrev_b32_sdwa v57, v76, v54 dst_sel:DWORD dst_unused:UNUSED_PAD src0_sel:DWORD src1_sel:BYTE_0
	v_lshlrev_b32_sdwa v58, v76, v54 dst_sel:DWORD dst_unused:UNUSED_PAD src0_sel:DWORD src1_sel:BYTE_1
	v_lshl_or_b32 v73, v0, 3, v77
	v_lshlrev_b32_sdwa v61, v76, v55 dst_sel:DWORD dst_unused:UNUSED_PAD src0_sel:DWORD src1_sel:BYTE_0
	v_lshlrev_b32_sdwa v64, v76, v55 dst_sel:DWORD dst_unused:UNUSED_PAD src0_sel:DWORD src1_sel:BYTE_1
	v_lshlrev_b32_sdwa v74, v76, v56 dst_sel:DWORD dst_unused:UNUSED_PAD src0_sel:DWORD src1_sel:BYTE_0
	v_lshlrev_b32_sdwa v75, v76, v56 dst_sel:DWORD dst_unused:UNUSED_PAD src0_sel:DWORD src1_sel:BYTE_1
	global_load_dwordx2 v[0:1], v57, s[0:1]
	global_load_dwordx2 v[52:53], v58, s[0:1] offset:2048
	v_lshlrev_b32_sdwa v80, v76, v60 dst_sel:DWORD dst_unused:UNUSED_PAD src0_sel:DWORD src1_sel:BYTE_0
	v_lshlrev_b32_sdwa v81, v76, v60 dst_sel:DWORD dst_unused:UNUSED_PAD src0_sel:DWORD src1_sel:BYTE_1
	v_lshlrev_b32_sdwa v88, v76, v71 dst_sel:DWORD dst_unused:UNUSED_PAD src0_sel:DWORD src1_sel:BYTE_0
	v_bfe_u32 v54, v54, 16, 8
	v_bfe_u32 v86, v56, 16, 8
	global_load_dwordx2 v[56:57], v61, s[0:1]
	global_load_dwordx2 v[58:59], v64, s[0:1] offset:2048
	v_bfe_u32 v87, v60, 16, 8
	global_load_dwordx2 v[60:61], v74, s[0:1]
	global_load_dwordx2 v[64:65], v75, s[0:1] offset:2048
	v_lshlrev_b32_sdwa v89, v76, v71 dst_sel:DWORD dst_unused:UNUSED_PAD src0_sel:DWORD src1_sel:BYTE_1
	global_load_dwordx2 v[74:75], v80, s[0:1]
	global_load_dwordx2 v[78:79], v81, s[0:1] offset:2048
	s_nop 0
	global_load_dwordx2 v[80:81], v88, s[0:1]
	global_load_dwordx2 v[82:83], v89, s[0:1] offset:2048
	global_load_dwordx2 v[84:85], v73, s[0:1]
	v_bfe_u32 v55, v55, 16, 8
	v_lshl_or_b32 v54, v54, 3, v77
	v_lshl_or_b32 v73, v86, 3, v77
	;; [unrolled: 1-line block ×4, first 2 shown]
	global_load_dwordx2 v[86:87], v54, s[0:1]
	global_load_dwordx2 v[88:89], v73, s[0:1]
	;; [unrolled: 1-line block ×3, first 2 shown]
	v_mov_b32_e32 v72, v3
	v_bfe_u32 v71, v71, 16, 8
	v_lshl_or_b32 v71, v71, 3, v77
	v_mov_b32_e32 v66, v5
	v_add_u32_e32 v107, 0x48, v23
	v_mov_b32_e32 v38, v47
	s_movk_i32 s18, 0xab
	s_andn2_b64 vcc, exec, s[2:3]
	s_waitcnt vmcnt(18)
	v_pk_mul_f32 v[92:93], v[16:17], v[50:51] op_sel:[0,1]
	s_nop 0
	v_pk_fma_f32 v[54:55], v[16:17], v[50:51], v[92:93] op_sel:[0,0,1] op_sel_hi:[1,1,0] neg_lo:[0,0,1] neg_hi:[0,0,1]
	v_pk_fma_f32 v[50:51], v[16:17], v[50:51], v[92:93] op_sel:[0,0,1] op_sel_hi:[1,0,0]
	v_pk_mul_f32 v[92:93], v[14:15], v[2:3] op_sel_hi:[1,0]
	v_mov_b32_e32 v55, v51
	v_pk_fma_f32 v[16:17], v[14:15], v[72:73], v[92:93] op_sel:[0,0,1] op_sel_hi:[1,1,0]
	v_pk_fma_f32 v[2:3], v[14:15], v[2:3], v[92:93] op_sel:[0,1,1] op_sel_hi:[1,1,0] neg_lo:[1,0,0] neg_hi:[1,0,0]
	global_load_dwordx2 v[14:15], v94, s[0:1]
	global_load_dwordx2 v[72:73], v71, s[0:1]
	s_waitcnt vmcnt(19)
	v_pk_mul_f32 v[92:93], v[10:11], v[4:5] op_sel_hi:[1,0]
	v_pk_mul_f32 v[94:95], v[12:13], v[48:49] op_sel:[0,1]
	v_pk_fma_f32 v[4:5], v[10:11], v[4:5], v[92:93] op_sel:[0,1,1] op_sel_hi:[1,1,0] neg_lo:[1,0,0] neg_hi:[1,0,0]
	v_pk_fma_f32 v[10:11], v[10:11], v[66:67], v[92:93] op_sel:[0,0,1] op_sel_hi:[1,1,0]
	v_pk_fma_f32 v[92:93], v[12:13], v[48:49], v[94:95] op_sel:[0,0,1] op_sel_hi:[1,1,0] neg_lo:[0,0,1] neg_hi:[0,0,1]
	v_pk_fma_f32 v[12:13], v[12:13], v[48:49], v[94:95] op_sel:[0,0,1] op_sel_hi:[1,0,0]
	s_waitcnt vmcnt(18)
	v_pk_mul_f32 v[48:49], v[6:7], v[46:47] op_sel_hi:[1,0]
	v_mul_lo_u32 v2, v20, v107
	v_pk_mul_f32 v[94:95], v[8:9], v[44:45] op_sel:[0,1]
	v_pk_fma_f32 v[96:97], v[6:7], v[38:39], v[48:49] op_sel:[0,0,1] op_sel_hi:[1,1,0]
	v_pk_fma_f32 v[6:7], v[6:7], v[46:47], v[48:49] op_sel:[0,1,1] op_sel_hi:[1,1,0] neg_lo:[1,0,0] neg_hi:[1,0,0]
	v_lshlrev_b32_sdwa v4, v76, v2 dst_sel:DWORD dst_unused:UNUSED_PAD src0_sel:DWORD src1_sel:BYTE_0
	v_pk_fma_f32 v[46:47], v[8:9], v[44:45], v[94:95] op_sel:[0,0,1] op_sel_hi:[1,1,0] neg_lo:[0,0,1] neg_hi:[0,0,1]
	v_pk_fma_f32 v[8:9], v[8:9], v[44:45], v[94:95] op_sel:[0,0,1] op_sel_hi:[1,0,0]
	v_lshlrev_b32_sdwa v6, v76, v2 dst_sel:DWORD dst_unused:UNUSED_PAD src0_sel:DWORD src1_sel:BYTE_1
	global_load_dwordx2 v[44:45], v4, s[0:1]
	global_load_dwordx2 v[48:49], v6, s[0:1] offset:2048
	v_bfe_u32 v2, v2, 16, 8
	v_lshl_or_b32 v2, v2, 3, v77
	global_load_dwordx2 v[94:95], v2, s[0:1]
	s_waitcnt vmcnt(19)
	v_mul_f32_e32 v2, v63, v69
	v_mul_f32_e32 v4, v62, v69
	v_fma_f32 v2, v62, v68, -v2
	v_fmac_f32_e32 v4, v63, v68
	global_load_dwordx2 v[62:63], v70, s[16:17] offset:112
	s_waitcnt vmcnt(18)
	v_mul_f32_e32 v6, v1, v53
	v_mul_f32_e32 v8, v0, v53
	v_fma_f32 v0, v0, v52, -v6
	v_fmac_f32_e32 v8, v1, v52
	s_waitcnt vmcnt(16)
	v_mul_f32_e32 v1, v57, v59
	v_mul_f32_e32 v6, v56, v59
	v_fma_f32 v1, v56, v58, -v1
	s_waitcnt vmcnt(9)
	v_mul_f32_e32 v52, v4, v85
	v_fmac_f32_e32 v6, v57, v58
	v_mul_f32_e32 v12, v60, v65
	v_mul_f32_e32 v17, v75, v79
	v_fma_f32 v56, v84, v2, -v52
	v_mul_f32_e32 v57, v2, v85
	s_waitcnt vmcnt(8)
	v_mul_f32_e32 v2, v8, v87
	v_mul_f32_e32 v11, v61, v65
	v_fmac_f32_e32 v12, v61, v64
	v_fma_f32 v17, v74, v78, -v17
	v_mul_f32_e32 v38, v74, v79
	v_fma_f32 v58, v86, v0, -v2
	v_mul_f32_e32 v59, v0, v87
	s_waitcnt vmcnt(6)
	v_mul_f32_e32 v0, v6, v91
	v_fma_f32 v11, v60, v64, -v11
	v_fmac_f32_e32 v38, v75, v78
	v_fma_f32 v60, v90, v1, -v0
	v_mul_f32_e32 v0, v12, v89
	v_mul_f32_e32 v50, v80, v83
	v_fma_f32 v64, v88, v11, -v0
	v_mul_f32_e32 v47, v81, v83
	v_fmac_f32_e32 v50, v81, v82
	v_fma_f32 v47, v80, v82, -v47
	v_fmac_f32_e32 v57, v84, v4
	v_mul_f32_e32 v61, v1, v91
	v_fmac_f32_e32 v61, v90, v6
	v_fmac_f32_e32 v59, v86, v8
	v_mov_b32_e32 v93, v13
	v_mov_b32_e32 v97, v7
	v_mul_f32_e32 v65, v11, v89
	v_fmac_f32_e32 v65, v88, v12
	v_mov_b32_e32 v11, v5
	s_waitcnt vmcnt(5)
	v_mul_f32_e32 v68, v17, v15
	v_mul_f32_e32 v0, v38, v15
	v_fmac_f32_e32 v68, v14, v38
	v_add_u32_e32 v38, 0x54, v23
	v_mul_lo_u32 v2, v20, v38
	v_fma_f32 v66, v14, v17, -v0
	s_waitcnt vmcnt(4)
	v_mul_f32_e32 v0, v50, v73
	v_lshlrev_b32_sdwa v4, v76, v2 dst_sel:DWORD dst_unused:UNUSED_PAD src0_sel:DWORD src1_sel:BYTE_0
	v_fma_f32 v69, v72, v47, -v0
	v_lshlrev_b32_sdwa v6, v76, v2 dst_sel:DWORD dst_unused:UNUSED_PAD src0_sel:DWORD src1_sel:BYTE_1
	global_load_dwordx2 v[0:1], v4, s[0:1]
	global_load_dwordx2 v[52:53], v6, s[0:1] offset:2048
	v_bfe_u32 v2, v2, 16, 8
	v_lshl_or_b32 v2, v2, 3, v77
	v_mul_f32_e32 v70, v47, v73
	v_mov_b32_e32 v17, v3
	v_mul_lo_u16_sdwa v3, v67, s18 dst_sel:DWORD dst_unused:UNUSED_PAD src0_sel:BYTE_0 src1_sel:DWORD
	v_mov_b32_e32 v47, v9
	s_waitcnt vmcnt(4)
	v_mul_f32_e32 v4, v44, v48
	v_fma_f32 v4, -v45, v49, v4
	v_pk_mul_f32 v[14:15], v[44:45], v[48:49] op_sel:[1,0] op_sel_hi:[0,1]
	global_load_dwordx2 v[44:45], v2, s[0:1]
	v_add_f32_e32 v6, v14, v15
	s_waitcnt vmcnt(4)
	v_mul_f32_e32 v2, v4, v95
	v_fmac_f32_e32 v2, v94, v6
	v_mul_f32_e32 v6, v6, v95
	v_fma_f32 v4, v94, v4, -v6
	v_mov_b32_e32 v6, v43
	s_waitcnt vmcnt(3)
	v_pk_mul_f32 v[8:9], v[62:63], v[42:43] op_sel_hi:[1,0]
	v_lshrrev_b16_e32 v3, 11, v3
	v_pk_fma_f32 v[6:7], v[62:63], v[6:7], v[8:9] op_sel:[0,0,1] op_sel_hi:[1,1,0]
	v_pk_fma_f32 v[8:9], v[62:63], v[42:43], v[8:9] op_sel:[0,1,1] op_sel_hi:[1,1,0] neg_lo:[1,0,0] neg_hi:[1,0,0]
	v_mul_lo_u16_e32 v3, 12, v3
	v_mov_b32_e32 v7, v9
	v_pk_add_f32 v[8:9], v[40:41], v[92:93] neg_lo:[0,1] neg_hi:[0,1]
	v_sub_u16_e32 v3, v67, v3
	v_pk_fma_f32 v[12:13], v[40:41], 2.0, v[8:9] op_sel_hi:[1,0,1] neg_lo:[0,0,1] neg_hi:[0,0,1]
	v_pk_add_f32 v[40:41], v[54:55], v[46:47] neg_lo:[0,1] neg_hi:[0,1]
	v_and_b32_e32 v78, 0xff, v3
	v_pk_fma_f32 v[14:15], v[54:55], 2.0, v[40:41] op_sel_hi:[1,0,1] neg_lo:[0,0,1] neg_hi:[0,0,1]
	v_fmac_f32_e32 v70, v72, v50
	v_mul_u32_u24_e32 v3, 7, v78
	v_pk_add_f32 v[50:51], v[16:17], v[96:97] neg_lo:[0,1] neg_hi:[0,1]
	v_pk_add_f32 v[6:7], v[10:11], v[6:7] neg_lo:[0,1] neg_hi:[0,1]
	;; [unrolled: 1-line block ×3, first 2 shown]
	v_lshlrev_b32_e32 v108, 3, v3
	v_pk_fma_f32 v[16:17], v[16:17], 2.0, v[50:51] op_sel_hi:[1,0,1] neg_lo:[0,0,1] neg_hi:[0,0,1]
	v_pk_fma_f32 v[10:11], v[10:11], 2.0, v[6:7] op_sel_hi:[1,0,1] neg_lo:[0,0,1] neg_hi:[0,0,1]
	v_fma_f32 v3, v12, 2.0, -v14
	v_mov_b32_e32 v12, v9
	v_fma_f32 v5, v13, 2.0, -v15
	v_pk_add_f32 v[12:13], v[12:13], v[40:41]
	v_pk_add_f32 v[10:11], v[16:17], v[10:11] neg_lo:[0,1] neg_hi:[0,1]
	v_fma_f32 v40, v9, 2.0, -v12
	v_fma_f32 v9, v17, 2.0, -v11
	;; [unrolled: 1-line block ×3, first 2 shown]
	v_mov_b32_e32 v16, v51
	v_pk_add_f32 v[16:17], v[16:17], v[6:7] neg_lo:[0,1] neg_hi:[0,1]
	v_sub_f32_e32 v6, v3, v9
	v_sub_f32_e32 v9, v5, v42
	v_fma_f32 v5, v5, 2.0, -v9
	v_fma_f32 v3, v3, 2.0, -v6
	v_mul_f32_e32 v17, v5, v57
	v_pk_add_f32 v[54:55], v[14:15], v[10:11] neg_lo:[0,1] neg_hi:[0,1]
	v_pk_add_f32 v[10:11], v[14:15], v[10:11]
	v_fma_f32 v48, v3, v56, -v17
	v_mul_f32_e32 v49, v3, v57
	v_fma_f32 v3, v14, 2.0, -v54
	v_fma_f32 v14, v15, 2.0, -v11
	v_fmac_f32_e32 v49, v5, v56
	v_mul_f32_e32 v5, v14, v61
	v_mul_f32_e32 v47, v3, v61
	v_fma_f32 v46, v3, v60, -v5
	v_fmac_f32_e32 v47, v14, v60
	v_mul_f32_e32 v3, v9, v68
	v_mov_b32_e32 v14, v11
	v_mov_b32_e32 v15, v54
	;; [unrolled: 1-line block ×3, first 2 shown]
	v_fma_f32 v42, v6, v66, -v3
	v_pk_mul_f32 v[2:3], v[14:15], v[2:3] op_sel_hi:[1,0]
	v_mul_f32_e32 v43, v6, v68
	v_pk_fma_f32 v[14:15], v[54:55], v[4:5], v[2:3] neg_lo:[0,0,1] neg_hi:[0,0,1]
	v_pk_fma_f32 v[2:3], v[10:11], v[4:5], v[2:3] op_sel_hi:[1,0,1]
	v_fmac_f32_e32 v43, v9, v66
	v_mov_b32_e32 v15, v3
	v_mov_b32_e32 v2, v41
	v_fma_f32 v17, v51, 2.0, -v16
	s_waitcnt vmcnt(1)
	v_mul_f32_e32 v9, v0, v52
	v_mul_f32_e32 v3, v1, v53
	;; [unrolled: 1-line block ×4, first 2 shown]
	v_pk_add_f32 v[2:3], v[8:9], v[2:3] neg_lo:[0,1] neg_hi:[0,1]
	v_mov_b32_e32 v0, v7
	v_fma_f32 v4, v8, 2.0, -v2
	v_pk_add_f32 v[0:1], v[50:51], v[0:1]
	v_fmamk_f32 v41, v17, 0xbf3504f3, v4
	v_fma_f32 v5, v50, 2.0, -v0
	v_fmac_f32_e32 v41, 0xbf3504f3, v5
	v_fmamk_f32 v50, v5, 0xbf3504f3, v40
	v_fma_f32 v51, v4, 2.0, -v41
	v_mov_b32_e32 v4, 0x3f3504f3
	s_waitcnt vmcnt(0)
	v_mov_b32_e32 v5, v45
	v_pk_fma_f32 v[6:7], v[0:1], v[4:5], v[12:13]
	v_fmac_f32_e32 v50, 0x3f3504f3, v17
	v_mov_b32_e32 v17, v3
	v_mov_b32_e32 v7, v44
	v_pk_fma_f32 v[8:9], v[16:17], v[4:5], v[2:3]
	v_pk_mul_f32 v[10:11], v[6:7], v[2:3]
	v_mul_f32_e32 v7, v44, v1
	v_mov_b32_e32 v9, v11
	v_fma_f32 v40, v40, 2.0, -v50
	v_pk_fma_f32 v[8:9], v[0:1], v[4:5], v[8:9] neg_lo:[1,0,0] neg_hi:[1,0,0]
	v_pk_fma_f32 v[0:1], v[16:17], v[4:5], v[6:7]
	v_mul_f32_e32 v4, v40, v59
	v_fma_f32 v3, v12, 2.0, -v0
	v_fma_f32 v2, v2, 2.0, -v8
	v_fma_f32 v56, v51, v58, -v4
	v_mul_f32_e32 v4, v3, v65
	v_fma_f32 v54, v2, v64, -v4
	v_mul_f32_e32 v55, v2, v65
	v_mul_f32_e32 v2, v50, v70
	v_mov_b32_e32 v4, v1
	v_mov_b32_e32 v5, v8
	v_fmac_f32_e32 v55, v3, v64
	v_fma_f32 v52, v41, v69, -v2
	v_mul_f32_e32 v53, v41, v70
	v_mov_b32_e32 v2, v9
	v_mov_b32_e32 v3, v0
	v_pk_mul_f32 v[0:1], v[0:1], v[4:5]
	v_mul_f32_e32 v57, v51, v59
	v_fmac_f32_e32 v53, v50, v69
	v_pk_fma_f32 v[50:51], v[8:9], v[2:3], v[0:1] neg_lo:[0,0,1] neg_hi:[0,0,1]
	v_pk_fma_f32 v[0:1], v[8:9], v[2:3], v[0:1]
	v_add_u32_e32 v3, 12, v78
	v_mul_lo_u32 v0, v20, v78
	v_mov_b32_e32 v51, v1
	v_lshlrev_b32_sdwa v1, v76, v0 dst_sel:DWORD dst_unused:UNUSED_PAD src0_sel:DWORD src1_sel:BYTE_0
	v_lshlrev_b32_sdwa v2, v76, v0 dst_sel:DWORD dst_unused:UNUSED_PAD src0_sel:DWORD src1_sel:BYTE_1
	v_bfe_u32 v0, v0, 16, 8
	v_mul_lo_u32 v3, v20, v3
	v_lshl_or_b32 v0, v0, 3, v77
	v_lshlrev_b32_sdwa v4, v76, v3 dst_sel:DWORD dst_unused:UNUSED_PAD src0_sel:DWORD src1_sel:BYTE_0
	global_load_dwordx2 v[64:65], v1, s[0:1]
	global_load_dwordx2 v[68:69], v2, s[0:1] offset:2048
	global_load_dwordx2 v[62:63], v0, s[0:1]
	global_load_dwordx2 v[60:61], v4, s[0:1]
	v_add_u32_e32 v2, 24, v78
	v_bfe_u32 v1, v3, 16, 8
	v_mul_lo_u32 v2, v20, v2
	v_lshlrev_b32_sdwa v0, v76, v3 dst_sel:DWORD dst_unused:UNUSED_PAD src0_sel:DWORD src1_sel:BYTE_1
	v_lshl_or_b32 v1, v1, 3, v77
	v_lshlrev_b32_sdwa v4, v76, v2 dst_sel:DWORD dst_unused:UNUSED_PAD src0_sel:DWORD src1_sel:BYTE_1
	v_lshlrev_b32_sdwa v3, v76, v2 dst_sel:DWORD dst_unused:UNUSED_PAD src0_sel:DWORD src1_sel:BYTE_0
	global_load_dwordx2 v[74:75], v0, s[0:1] offset:2048
	global_load_dwordx2 v[72:73], v1, s[0:1]
	global_load_dwordx2 v[66:67], v3, s[0:1]
	global_load_dwordx2 v[70:71], v4, s[0:1] offset:2048
	v_add_u32_e32 v1, 36, v78
	v_or_b32_e32 v4, 48, v78
	v_add_u32_e32 v7, 60, v78
	v_add_u32_e32 v10, 0x48, v78
	v_mul_lo_u32 v1, v20, v1
	v_mul_lo_u32 v4, v20, v4
	;; [unrolled: 1-line block ×4, first 2 shown]
	v_add_u32_e32 v13, 0x54, v78
	v_bfe_u32 v0, v2, 16, 8
	v_lshlrev_b32_sdwa v2, v76, v1 dst_sel:DWORD dst_unused:UNUSED_PAD src0_sel:DWORD src1_sel:BYTE_0
	v_lshlrev_b32_sdwa v3, v76, v1 dst_sel:DWORD dst_unused:UNUSED_PAD src0_sel:DWORD src1_sel:BYTE_1
	v_bfe_u32 v1, v1, 16, 8
	v_lshlrev_b32_sdwa v5, v76, v4 dst_sel:DWORD dst_unused:UNUSED_PAD src0_sel:DWORD src1_sel:BYTE_0
	v_lshlrev_b32_sdwa v6, v76, v4 dst_sel:DWORD dst_unused:UNUSED_PAD src0_sel:DWORD src1_sel:BYTE_1
	v_bfe_u32 v4, v4, 16, 8
	v_lshlrev_b32_sdwa v8, v76, v7 dst_sel:DWORD dst_unused:UNUSED_PAD src0_sel:DWORD src1_sel:BYTE_0
	v_lshlrev_b32_sdwa v9, v76, v7 dst_sel:DWORD dst_unused:UNUSED_PAD src0_sel:DWORD src1_sel:BYTE_1
	v_bfe_u32 v7, v7, 16, 8
	v_lshlrev_b32_sdwa v11, v76, v10 dst_sel:DWORD dst_unused:UNUSED_PAD src0_sel:DWORD src1_sel:BYTE_0
	v_lshlrev_b32_sdwa v12, v76, v10 dst_sel:DWORD dst_unused:UNUSED_PAD src0_sel:DWORD src1_sel:BYTE_1
	v_bfe_u32 v10, v10, 16, 8
	v_mul_lo_u32 v13, v20, v13
	v_lshl_or_b32 v0, v0, 3, v77
	v_lshl_or_b32 v1, v1, 3, v77
	;; [unrolled: 1-line block ×5, first 2 shown]
	v_lshlrev_b32_sdwa v44, v76, v13 dst_sel:DWORD dst_unused:UNUSED_PAD src0_sel:DWORD src1_sel:BYTE_0
	v_lshlrev_b32_sdwa v45, v76, v13 dst_sel:DWORD dst_unused:UNUSED_PAD src0_sel:DWORD src1_sel:BYTE_1
	v_bfe_u32 v13, v13, 16, 8
	v_fmac_f32_e32 v57, v40, v58
	v_lshl_or_b32 v109, v13, 3, v77
	global_load_dwordx2 v[100:101], v0, s[0:1]
	global_load_dwordx2 v[96:97], v2, s[0:1]
	global_load_dwordx2 v[98:99], v3, s[0:1] offset:2048
	global_load_dwordx2 v[94:95], v1, s[0:1]
	global_load_dwordx2 v[90:91], v5, s[0:1]
	global_load_dwordx2 v[92:93], v6, s[0:1] offset:2048
	;; [unrolled: 3-line block ×5, first 2 shown]
                                        ; kill: killed $vgpr9
                                        ; kill: killed $vgpr4
                                        ; kill: killed $vgpr8
                                        ; kill: killed $vgpr6
                                        ; kill: killed $vgpr1
                                        ; kill: killed $vgpr45
                                        ; kill: killed $vgpr5
                                        ; kill: killed $vgpr3
                                        ; kill: killed $vgpr44
                                        ; kill: killed $vgpr0
                                        ; kill: killed $vgpr2
                                        ; kill: killed $vgpr10
                                        ; kill: killed $vgpr12
                                        ; kill: killed $vgpr7
                                        ; kill: killed $vgpr11
	s_nop 0
	global_load_dwordx2 v[12:13], v109, s[0:1]
	global_load_dwordx2 v[58:59], v108, s[16:17] offset:112
	global_load_dwordx4 v[0:3], v108, s[16:17] offset:96
	global_load_dwordx4 v[4:7], v108, s[16:17] offset:80
	;; [unrolled: 1-line block ×3, first 2 shown]
	s_cbranch_vccnz .LBB0_18
; %bb.17:
	v_mad_u64_u32 v[44:45], s[0:1], s12, v18, 0
	v_mov_b32_e32 v108, v45
	v_mad_u64_u32 v[108:109], s[0:1], s13, v18, v[108:109]
	v_mov_b32_e32 v45, v108
	;; [unrolled: 2-line block ×3, first 2 shown]
	v_mad_u64_u32 v[110:111], s[0:1], s9, v23, v[110:111]
	s_lshl_b64 s[0:1], s[6:7], 3
	s_add_u32 s0, s14, s0
	s_addc_u32 s1, s15, s1
	v_mov_b32_e32 v109, v110
	v_lshl_add_u64 v[44:45], v[44:45], 3, s[0:1]
	v_lshl_add_u64 v[108:109], v[108:109], 3, v[44:45]
	global_store_dwordx2 v[108:109], v[48:49], off
	v_mad_u64_u32 v[108:109], s[0:1], s8, v105, 0
	v_mov_b32_e32 v110, v109
	v_mad_u64_u32 v[110:111], s[0:1], s9, v105, v[110:111]
	v_mov_b32_e32 v109, v110
	v_lshl_add_u64 v[108:109], v[108:109], 3, v[44:45]
	global_store_dwordx2 v[108:109], v[56:57], off
	v_mad_u64_u32 v[108:109], s[0:1], s8, v104, 0
	v_mov_b32_e32 v110, v109
	v_mad_u64_u32 v[110:111], s[0:1], s9, v104, v[110:111]
	v_mov_b32_e32 v109, v110
	;; [unrolled: 6-line block ×3, first 2 shown]
	v_lshl_add_u64 v[108:109], v[108:109], 3, v[44:45]
	v_add_u32_e32 v111, 48, v23
	global_store_dwordx2 v[108:109], v[54:55], off
	v_mad_u64_u32 v[108:109], s[0:1], s8, v111, 0
	v_mov_b32_e32 v110, v109
	v_mad_u64_u32 v[110:111], s[0:1], s9, v111, v[110:111]
	v_mov_b32_e32 v109, v110
	v_lshl_add_u64 v[108:109], v[108:109], 3, v[44:45]
	global_store_dwordx2 v[108:109], v[42:43], off
	v_mad_u64_u32 v[108:109], s[0:1], s8, v106, 0
	v_mov_b32_e32 v110, v109
	v_mad_u64_u32 v[110:111], s[0:1], s9, v106, v[110:111]
	v_mov_b32_e32 v109, v110
	v_lshl_add_u64 v[108:109], v[108:109], 3, v[44:45]
	;; [unrolled: 6-line block ×4, first 2 shown]
	s_and_b64 s[0:1], s[4:5], exec
	global_store_dwordx2 v[108:109], v[50:51], off
	s_cbranch_execz .LBB0_19
	s_branch .LBB0_22
.LBB0_18:
	s_mov_b64 s[0:1], 0
                                        ; implicit-def: $vgpr44_vgpr45
.LBB0_19:
	v_cmp_gt_u64_e32 vcc, s[10:11], v[20:21]
                                        ; implicit-def: $vgpr44_vgpr45
	s_and_saveexec_b64 s[2:3], vcc
	s_cbranch_execz .LBB0_21
; %bb.20:
	v_mad_u64_u32 v[20:21], s[10:11], s12, v18, 0
	v_mov_b32_e32 v38, v21
	v_mad_u64_u32 v[108:109], s[10:11], s8, v23, 0
	s_lshl_b64 s[6:7], s[6:7], 3
	v_mad_u64_u32 v[44:45], s[10:11], s13, v18, v[38:39]
	v_mov_b32_e32 v18, v109
	s_add_u32 s6, s14, s6
	v_mov_b32_e32 v21, v44
	v_mad_u64_u32 v[44:45], s[10:11], s9, v23, v[18:19]
	s_addc_u32 s7, s15, s7
	v_mov_b32_e32 v109, v44
	v_lshl_add_u64 v[44:45], v[20:21], 3, s[6:7]
	v_lshl_add_u64 v[20:21], v[108:109], 3, v[44:45]
	global_store_dwordx2 v[20:21], v[48:49], off
	v_mad_u64_u32 v[20:21], s[6:7], s8, v105, 0
	v_mov_b32_e32 v18, v21
	v_mad_u64_u32 v[48:49], s[6:7], s9, v105, v[18:19]
	v_mov_b32_e32 v21, v48
	v_lshl_add_u64 v[20:21], v[20:21], 3, v[44:45]
	global_store_dwordx2 v[20:21], v[56:57], off
	v_mad_u64_u32 v[20:21], s[6:7], s8, v104, 0
	v_mov_b32_e32 v18, v21
	v_mad_u64_u32 v[48:49], s[6:7], s9, v104, v[18:19]
	v_mov_b32_e32 v21, v48
	;; [unrolled: 6-line block ×3, first 2 shown]
	v_lshl_add_u64 v[20:21], v[20:21], 3, v[44:45]
	v_add_u32_e32 v38, 48, v23
	global_store_dwordx2 v[20:21], v[54:55], off
	v_mad_u64_u32 v[20:21], s[6:7], s8, v38, 0
	v_mov_b32_e32 v18, v21
	v_mad_u64_u32 v[46:47], s[6:7], s9, v38, v[18:19]
	v_mov_b32_e32 v21, v46
	v_lshl_add_u64 v[20:21], v[20:21], 3, v[44:45]
	global_store_dwordx2 v[20:21], v[42:43], off
	v_mad_u64_u32 v[20:21], s[6:7], s8, v106, 0
	v_mov_b32_e32 v18, v21
	v_mad_u64_u32 v[42:43], s[6:7], s9, v106, v[18:19]
	v_mov_b32_e32 v21, v42
	v_lshl_add_u64 v[20:21], v[20:21], 3, v[44:45]
	v_add_u32_e32 v38, 0x48, v23
	global_store_dwordx2 v[20:21], v[52:53], off
	v_mad_u64_u32 v[20:21], s[6:7], s8, v38, 0
	v_mov_b32_e32 v18, v21
	v_mad_u64_u32 v[42:43], s[6:7], s9, v38, v[18:19]
	v_mov_b32_e32 v21, v42
	v_lshl_add_u64 v[20:21], v[20:21], 3, v[44:45]
	global_store_dwordx2 v[20:21], v[14:15], off
	v_add_u32_e32 v20, 0x54, v23
	v_mad_u64_u32 v[14:15], s[6:7], s8, v20, 0
	v_mov_b32_e32 v18, v15
	v_mad_u64_u32 v[20:21], s[6:7], s9, v20, v[18:19]
	v_mov_b32_e32 v15, v20
	s_andn2_b64 s[0:1], s[0:1], exec
	s_and_b64 s[4:5], s[4:5], exec
	v_lshl_add_u64 v[14:15], v[14:15], 3, v[44:45]
	s_or_b64 s[0:1], s[0:1], s[4:5]
	global_store_dwordx2 v[14:15], v[50:51], off
.LBB0_21:
	s_or_b64 exec, exec, s[2:3]
.LBB0_22:
	s_and_saveexec_b64 s[2:3], s[0:1]
	s_cbranch_execnz .LBB0_24
; %bb.23:
	s_endpgm
.LBB0_24:
	s_waitcnt vmcnt(26)
	v_mul_f32_e32 v14, v65, v69
	v_fma_f32 v14, v64, v68, -v14
	v_mul_f32_e32 v15, v64, v69
	v_fmac_f32_e32 v15, v65, v68
	s_waitcnt vmcnt(25)
	v_mul_f32_e32 v43, v14, v63
	v_mov_b32_e32 v23, v39
	v_mul_f32_e32 v18, v15, v63
	v_fmac_f32_e32 v43, v62, v15
	s_waitcnt vmcnt(23)
	v_mul_f32_e32 v15, v60, v75
	v_mov_b32_e32 v20, v25
	s_waitcnt vmcnt(0)
	v_pk_mul_f32 v[38:39], v[24:25], v[8:9] op_sel_hi:[0,1]
	v_mov_b32_e32 v24, v25
	v_fma_f32 v42, v62, v14, -v18
	v_mul_f32_e32 v14, v61, v75
	v_fmac_f32_e32 v15, v61, v74
	v_pk_fma_f32 v[20:21], v[20:21], v[8:9], v[38:39] op_sel:[0,0,1] op_sel_hi:[1,1,0]
	v_pk_fma_f32 v[8:9], v[24:25], v[8:9], v[38:39] op_sel:[0,0,1] op_sel_hi:[0,1,0] neg_lo:[1,0,0] neg_hi:[1,0,0]
	v_fma_f32 v14, v60, v74, -v14
	v_mul_f32_e32 v18, v15, v73
	v_mov_b32_e32 v8, v27
	v_fma_f32 v46, v72, v14, -v18
	v_mul_f32_e32 v47, v14, v73
	v_mul_f32_e32 v14, v67, v71
	v_mov_b32_e32 v21, v9
	v_pk_mul_f32 v[8:9], v[8:9], v[10:11] op_sel_hi:[0,1]
	v_fmac_f32_e32 v47, v72, v15
	v_fma_f32 v14, v66, v70, -v14
	v_mul_f32_e32 v15, v66, v71
	v_pk_fma_f32 v[24:25], v[28:29], v[10:11], v[8:9] op_sel:[0,0,1] op_sel_hi:[1,1,0] neg_lo:[0,0,1] neg_hi:[0,0,1]
	v_pk_fma_f32 v[8:9], v[28:29], v[10:11], v[8:9] op_sel:[0,0,1] op_sel_hi:[0,1,0]
	v_fmac_f32_e32 v15, v67, v70
	v_mul_f32_e32 v49, v14, v101
	v_mov_b32_e32 v8, v29
	v_pk_mul_f32 v[10:11], v[26:27], v[4:5] op_sel_hi:[0,1]
	v_mov_b32_e32 v26, v29
	v_mul_f32_e32 v18, v15, v101
	v_fmac_f32_e32 v49, v100, v15
	v_mul_f32_e32 v15, v96, v99
	v_mov_b32_e32 v25, v9
	v_pk_fma_f32 v[8:9], v[8:9], v[4:5], v[10:11] op_sel:[0,0,1] op_sel_hi:[1,1,0]
	v_pk_fma_f32 v[4:5], v[26:27], v[4:5], v[10:11] op_sel:[0,0,1] op_sel_hi:[0,1,0] neg_lo:[1,0,0] neg_hi:[1,0,0]
	v_fma_f32 v48, v100, v14, -v18
	v_mul_f32_e32 v14, v97, v99
	v_fmac_f32_e32 v15, v97, v98
	v_mov_b32_e32 v4, v37
	v_fma_f32 v14, v96, v98, -v14
	v_mul_f32_e32 v18, v15, v95
	v_mov_b32_e32 v9, v5
	v_pk_mul_f32 v[4:5], v[4:5], v[6:7] op_sel_hi:[0,1]
	v_fma_f32 v50, v94, v14, -v18
	v_mul_f32_e32 v51, v14, v95
	v_mul_f32_e32 v14, v91, v93
	v_pk_fma_f32 v[10:11], v[36:37], v[6:7], v[4:5] op_sel:[0,0,1] op_sel_hi:[1,1,0] neg_lo:[0,0,1] neg_hi:[0,0,1]
	v_pk_fma_f32 v[4:5], v[36:37], v[6:7], v[4:5] op_sel:[0,0,1] op_sel_hi:[0,1,0]
	v_fmac_f32_e32 v51, v94, v15
	v_fma_f32 v14, v90, v92, -v14
	v_mul_f32_e32 v15, v90, v93
	v_mov_b32_e32 v4, v35
	v_pk_mul_f32 v[6:7], v[34:35], v[0:1] op_sel_hi:[0,1]
	v_mov_b32_e32 v26, v35
	v_fmac_f32_e32 v15, v91, v92
	v_mul_f32_e32 v53, v14, v89
	v_mov_b32_e32 v11, v5
	v_pk_fma_f32 v[4:5], v[4:5], v[0:1], v[6:7] op_sel:[0,0,1] op_sel_hi:[1,1,0]
	v_pk_fma_f32 v[0:1], v[26:27], v[0:1], v[6:7] op_sel:[0,0,1] op_sel_hi:[0,1,0] neg_lo:[1,0,0] neg_hi:[1,0,0]
	v_mul_f32_e32 v18, v15, v89
	v_fmac_f32_e32 v53, v88, v15
	v_mul_f32_e32 v15, v84, v87
	v_mov_b32_e32 v0, v33
	v_fma_f32 v52, v88, v14, -v18
	v_mul_f32_e32 v14, v85, v87
	v_fmac_f32_e32 v15, v85, v86
	v_mov_b32_e32 v5, v1
	v_pk_mul_f32 v[0:1], v[0:1], v[2:3] op_sel_hi:[0,1]
	v_fma_f32 v14, v84, v86, -v14
	v_mul_f32_e32 v18, v15, v83
	v_pk_fma_f32 v[6:7], v[32:33], v[2:3], v[0:1] op_sel:[0,0,1] op_sel_hi:[1,1,0] neg_lo:[0,0,1] neg_hi:[0,0,1]
	v_pk_fma_f32 v[0:1], v[32:33], v[2:3], v[0:1] op_sel:[0,0,1] op_sel_hi:[0,1,0]
	v_fma_f32 v54, v82, v14, -v18
	v_mul_f32_e32 v55, v14, v83
	v_mul_f32_e32 v14, v78, v80
	v_mov_b32_e32 v0, v31
	v_pk_mul_f32 v[2:3], v[30:31], v[58:59] op_sel_hi:[0,1]
	v_mov_b32_e32 v26, v31
	v_fmac_f32_e32 v55, v82, v15
	v_fma_f32 v18, -v79, v81, v14
	v_pk_mul_f32 v[14:15], v[78:79], v[80:81] op_sel:[1,0] op_sel_hi:[0,1]
	v_mov_b32_e32 v7, v1
	v_pk_fma_f32 v[0:1], v[0:1], v[58:59], v[2:3] op_sel:[0,0,1] op_sel_hi:[1,1,0]
	v_pk_fma_f32 v[2:3], v[26:27], v[58:59], v[2:3] op_sel:[0,0,1] op_sel_hi:[0,1,0] neg_lo:[1,0,0] neg_hi:[1,0,0]
	v_add_f32_e32 v15, v14, v15
	v_mov_b32_e32 v1, v3
	v_pk_add_f32 v[2:3], v[22:23], v[10:11] neg_lo:[0,1] neg_hi:[0,1]
	v_pk_add_f32 v[6:7], v[24:25], v[6:7] neg_lo:[0,1] neg_hi:[0,1]
	v_mul_f32_e32 v14, v15, v77
	v_pk_fma_f32 v[10:11], v[22:23], 2.0, v[2:3] op_sel_hi:[1,0,1] neg_lo:[0,0,1] neg_hi:[0,0,1]
	v_pk_fma_f32 v[22:23], v[24:25], 2.0, v[6:7] op_sel_hi:[1,0,1] neg_lo:[0,0,1] neg_hi:[0,0,1]
	v_fma_f32 v14, v76, v18, -v14
	v_mul_f32_e32 v18, v18, v77
	v_pk_add_f32 v[4:5], v[20:21], v[4:5] neg_lo:[0,1] neg_hi:[0,1]
	v_pk_add_f32 v[0:1], v[8:9], v[0:1] neg_lo:[0,1] neg_hi:[0,1]
	;; [unrolled: 1-line block ×3, first 2 shown]
	v_fmac_f32_e32 v18, v76, v15
	v_pk_fma_f32 v[20:21], v[20:21], 2.0, v[4:5] op_sel_hi:[1,0,1] neg_lo:[0,0,1] neg_hi:[0,0,1]
	v_pk_fma_f32 v[8:9], v[8:9], 2.0, v[0:1] op_sel_hi:[1,0,1] neg_lo:[0,0,1] neg_hi:[0,0,1]
	v_fma_f32 v15, v10, 2.0, -v22
	v_mov_b32_e32 v10, v3
	v_fma_f32 v24, v11, 2.0, -v23
	v_pk_add_f32 v[10:11], v[10:11], v[6:7]
	v_pk_add_f32 v[8:9], v[20:21], v[8:9] neg_lo:[0,1] neg_hi:[0,1]
	v_fma_f32 v32, v3, 2.0, -v10
	v_fma_f32 v3, v21, 2.0, -v9
	v_fma_f32 v25, v20, 2.0, -v8
	v_mov_b32_e32 v6, v5
	v_pk_add_f32 v[20:21], v[6:7], v[0:1] neg_lo:[0,1] neg_hi:[0,1]
	v_sub_f32_e32 v0, v15, v3
	v_sub_f32_e32 v3, v24, v25
	v_fma_f32 v6, v24, 2.0, -v3
	v_pk_add_f32 v[24:25], v[22:23], v[8:9] neg_lo:[0,1] neg_hi:[0,1]
	v_pk_add_f32 v[8:9], v[22:23], v[8:9]
	v_fma_f32 v21, v5, 2.0, -v20
	v_fma_f32 v5, v15, 2.0, -v0
	v_fma_f32 v15, v22, 2.0, -v24
	v_fma_f32 v28, v23, 2.0, -v9
	v_mul_f32_e32 v22, v6, v43
	v_mov_b32_e32 v30, v9
	v_mov_b32_e32 v31, v24
	;; [unrolled: 1-line block ×3, first 2 shown]
	v_fma_f32 v22, v5, v42, -v22
	v_mul_f32_e32 v23, v5, v43
	v_mul_f32_e32 v5, v28, v49
	;; [unrolled: 1-line block ×3, first 2 shown]
	v_pk_mul_f32 v[30:31], v[30:31], v[18:19] op_sel_hi:[1,0]
	v_fma_f32 v26, v15, v48, -v5
	v_mul_f32_e32 v27, v15, v49
	v_mul_f32_e32 v5, v3, v53
	v_fmac_f32_e32 v29, v3, v52
	v_pk_fma_f32 v[24:25], v[24:25], v[14:15], v[30:31] neg_lo:[0,0,1] neg_hi:[0,0,1]
	v_pk_fma_f32 v[8:9], v[8:9], v[14:15], v[30:31] op_sel_hi:[1,0,1]
	v_mul_f32_e32 v3, v16, v40
	v_mul_f32_e32 v15, v17, v41
	v_mov_b32_e32 v14, v7
	v_fmac_f32_e32 v23, v6, v42
	v_fmac_f32_e32 v27, v28, v48
	v_fma_f32 v28, v0, v52, -v5
	v_mul_f32_e32 v5, v17, v40
	v_mul_f32_e32 v17, v16, v41
	v_pk_add_f32 v[6:7], v[2:3], v[14:15] neg_lo:[0,1] neg_hi:[0,1]
	v_mov_b32_e32 v16, v1
	v_fma_f32 v2, v2, 2.0, -v6
	v_pk_add_f32 v[0:1], v[4:5], v[16:17]
	v_fmamk_f32 v8, v21, 0xbf3504f3, v2
	v_fma_f32 v3, v4, 2.0, -v0
	v_fmac_f32_e32 v8, 0xbf3504f3, v3
	v_fmamk_f32 v18, v3, 0xbf3504f3, v32
	v_fma_f32 v25, v2, 2.0, -v8
	v_mov_b32_e32 v2, 0x3f3504f3
	v_mov_b32_e32 v3, v13
	v_pk_fma_f32 v[4:5], v[0:1], v[2:3], v[10:11]
	v_fmac_f32_e32 v18, 0x3f3504f3, v21
	v_mov_b32_e32 v21, v7
	v_mov_b32_e32 v5, v12
	v_pk_fma_f32 v[14:15], v[20:21], v[2:3], v[6:7]
	v_pk_mul_f32 v[16:17], v[4:5], v[6:7]
	v_mul_f32_e32 v5, v12, v1
	v_mov_b32_e32 v15, v17
	v_pk_fma_f32 v[14:15], v[0:1], v[2:3], v[14:15] neg_lo:[1,0,0] neg_hi:[1,0,0]
	v_pk_fma_f32 v[0:1], v[20:21], v[2:3], v[4:5]
	v_fma_f32 v6, v6, 2.0, -v14
	v_fma_f32 v7, v10, 2.0, -v0
	v_mul_f32_e32 v4, v7, v51
	v_fma_f32 v4, v6, v50, -v4
	v_mul_f32_e32 v5, v6, v51
	v_mul_f32_e32 v6, v18, v55
	v_mov_b32_e32 v12, v1
	v_mov_b32_e32 v13, v14
	v_fmac_f32_e32 v5, v7, v50
	v_fma_f32 v6, v8, v54, -v6
	v_mul_f32_e32 v7, v8, v55
	v_mov_b32_e32 v10, v15
	v_mov_b32_e32 v11, v0
	v_pk_mul_f32 v[0:1], v[0:1], v[12:13]
	v_or_b32_e32 v8, 8, v102
	v_pk_fma_f32 v[12:13], v[14:15], v[10:11], v[0:1] neg_lo:[0,0,1] neg_hi:[0,0,1]
	v_pk_fma_f32 v[0:1], v[14:15], v[10:11], v[0:1]
	v_mad_u64_u32 v[10:11], s[0:1], s8, v8, 0
	v_mov_b32_e32 v0, v11
	v_mad_u64_u32 v[14:15], s[0:1], s9, v8, v[0:1]
	v_mov_b32_e32 v11, v14
	v_lshl_add_u64 v[10:11], v[10:11], 3, v[44:45]
	v_add_u32_e32 v8, 20, v102
	global_store_dwordx2 v[10:11], v[22:23], off
	v_mad_u64_u32 v[10:11], s[0:1], s8, v8, 0
	v_mov_b32_e32 v0, v11
	v_fma_f32 v30, v32, 2.0, -v18
	v_mad_u64_u32 v[14:15], s[0:1], s9, v8, v[0:1]
	v_mul_f32_e32 v2, v30, v47
	v_mul_f32_e32 v3, v25, v47
	v_mov_b32_e32 v11, v14
	v_fma_f32 v2, v25, v46, -v2
	v_fmac_f32_e32 v3, v30, v46
	v_lshl_add_u64 v[10:11], v[10:11], 3, v[44:45]
	global_store_dwordx2 v[10:11], v[2:3], off
	v_mad_u64_u32 v[2:3], s[0:1], s8, v19, 0
	v_mov_b32_e32 v0, v3
	v_mad_u64_u32 v[10:11], s[0:1], s9, v19, v[0:1]
	v_mov_b32_e32 v3, v10
	v_lshl_add_u64 v[2:3], v[2:3], 3, v[44:45]
	v_add_u32_e32 v8, 44, v102
	global_store_dwordx2 v[2:3], v[26:27], off
	v_mad_u64_u32 v[2:3], s[0:1], s8, v8, 0
	v_mov_b32_e32 v0, v3
	v_mad_u64_u32 v[10:11], s[0:1], s9, v8, v[0:1]
	v_mov_b32_e32 v3, v10
	v_lshl_add_u64 v[2:3], v[2:3], 3, v[44:45]
	global_store_dwordx2 v[2:3], v[4:5], off
	v_or_b32_e32 v4, 56, v102
	v_mad_u64_u32 v[2:3], s[0:1], s8, v4, 0
	v_mov_b32_e32 v0, v3
	v_mad_u64_u32 v[4:5], s[0:1], s9, v4, v[0:1]
	v_mov_b32_e32 v3, v4
	v_lshl_add_u64 v[2:3], v[2:3], 3, v[44:45]
	v_add_u32_e32 v4, 0x44, v102
	global_store_dwordx2 v[2:3], v[28:29], off
	v_mad_u64_u32 v[2:3], s[0:1], s8, v4, 0
	v_mov_b32_e32 v0, v3
	v_mad_u64_u32 v[4:5], s[0:1], s9, v4, v[0:1]
	v_mov_b32_e32 v3, v4
	v_fmac_f32_e32 v7, v18, v54
	v_lshl_add_u64 v[2:3], v[2:3], 3, v[44:45]
	v_or_b32_e32 v4, 0x50, v102
	global_store_dwordx2 v[2:3], v[6:7], off
	v_mad_u64_u32 v[2:3], s[0:1], s8, v4, 0
	v_mov_b32_e32 v0, v3
	v_mad_u64_u32 v[4:5], s[0:1], s9, v4, v[0:1]
	v_mov_b32_e32 v3, v4
	v_lshl_add_u64 v[2:3], v[2:3], 3, v[44:45]
	v_mov_b32_e32 v25, v9
	v_add_u32_e32 v4, 0x5c, v102
	global_store_dwordx2 v[2:3], v[24:25], off
	v_mad_u64_u32 v[2:3], s[0:1], s8, v4, 0
	v_mov_b32_e32 v0, v3
	v_mad_u64_u32 v[4:5], s[0:1], s9, v4, v[0:1]
	v_mov_b32_e32 v3, v4
	v_lshl_add_u64 v[2:3], v[2:3], 3, v[44:45]
	v_mov_b32_e32 v13, v1
	global_store_dwordx2 v[2:3], v[12:13], off
	s_endpgm
	.section	.rodata,"a",@progbits
	.p2align	6, 0x0
	.amdhsa_kernel fft_rtc_fwd_len96_factors_4_3_8_wgs_192_tpt_8_dim3_sp_ip_CI_sbcc_twdbase8_3step_dirReg
		.amdhsa_group_segment_fixed_size 0
		.amdhsa_private_segment_fixed_size 0
		.amdhsa_kernarg_size 88
		.amdhsa_user_sgpr_count 2
		.amdhsa_user_sgpr_dispatch_ptr 0
		.amdhsa_user_sgpr_queue_ptr 0
		.amdhsa_user_sgpr_kernarg_segment_ptr 1
		.amdhsa_user_sgpr_dispatch_id 0
		.amdhsa_user_sgpr_kernarg_preload_length 0
		.amdhsa_user_sgpr_kernarg_preload_offset 0
		.amdhsa_user_sgpr_private_segment_size 0
		.amdhsa_uses_dynamic_stack 0
		.amdhsa_enable_private_segment 0
		.amdhsa_system_sgpr_workgroup_id_x 1
		.amdhsa_system_sgpr_workgroup_id_y 0
		.amdhsa_system_sgpr_workgroup_id_z 0
		.amdhsa_system_sgpr_workgroup_info 0
		.amdhsa_system_vgpr_workitem_id 0
		.amdhsa_next_free_vgpr 112
		.amdhsa_next_free_sgpr 27
		.amdhsa_accum_offset 112
		.amdhsa_reserve_vcc 1
		.amdhsa_float_round_mode_32 0
		.amdhsa_float_round_mode_16_64 0
		.amdhsa_float_denorm_mode_32 3
		.amdhsa_float_denorm_mode_16_64 3
		.amdhsa_dx10_clamp 1
		.amdhsa_ieee_mode 1
		.amdhsa_fp16_overflow 0
		.amdhsa_tg_split 0
		.amdhsa_exception_fp_ieee_invalid_op 0
		.amdhsa_exception_fp_denorm_src 0
		.amdhsa_exception_fp_ieee_div_zero 0
		.amdhsa_exception_fp_ieee_overflow 0
		.amdhsa_exception_fp_ieee_underflow 0
		.amdhsa_exception_fp_ieee_inexact 0
		.amdhsa_exception_int_div_zero 0
	.end_amdhsa_kernel
	.text
.Lfunc_end0:
	.size	fft_rtc_fwd_len96_factors_4_3_8_wgs_192_tpt_8_dim3_sp_ip_CI_sbcc_twdbase8_3step_dirReg, .Lfunc_end0-fft_rtc_fwd_len96_factors_4_3_8_wgs_192_tpt_8_dim3_sp_ip_CI_sbcc_twdbase8_3step_dirReg
                                        ; -- End function
	.section	.AMDGPU.csdata,"",@progbits
; Kernel info:
; codeLenInByte = 8404
; NumSgprs: 33
; NumVgprs: 112
; NumAgprs: 0
; TotalNumVgprs: 112
; ScratchSize: 0
; MemoryBound: 0
; FloatMode: 240
; IeeeMode: 1
; LDSByteSize: 0 bytes/workgroup (compile time only)
; SGPRBlocks: 4
; VGPRBlocks: 13
; NumSGPRsForWavesPerEU: 33
; NumVGPRsForWavesPerEU: 112
; AccumOffset: 112
; Occupancy: 4
; WaveLimiterHint : 1
; COMPUTE_PGM_RSRC2:SCRATCH_EN: 0
; COMPUTE_PGM_RSRC2:USER_SGPR: 2
; COMPUTE_PGM_RSRC2:TRAP_HANDLER: 0
; COMPUTE_PGM_RSRC2:TGID_X_EN: 1
; COMPUTE_PGM_RSRC2:TGID_Y_EN: 0
; COMPUTE_PGM_RSRC2:TGID_Z_EN: 0
; COMPUTE_PGM_RSRC2:TIDIG_COMP_CNT: 0
; COMPUTE_PGM_RSRC3_GFX90A:ACCUM_OFFSET: 27
; COMPUTE_PGM_RSRC3_GFX90A:TG_SPLIT: 0
	.text
	.p2alignl 6, 3212836864
	.fill 256, 4, 3212836864
	.type	__hip_cuid_3e94337110ad86ac,@object ; @__hip_cuid_3e94337110ad86ac
	.section	.bss,"aw",@nobits
	.globl	__hip_cuid_3e94337110ad86ac
__hip_cuid_3e94337110ad86ac:
	.byte	0                               ; 0x0
	.size	__hip_cuid_3e94337110ad86ac, 1

	.ident	"AMD clang version 19.0.0git (https://github.com/RadeonOpenCompute/llvm-project roc-6.4.0 25133 c7fe45cf4b819c5991fe208aaa96edf142730f1d)"
	.section	".note.GNU-stack","",@progbits
	.addrsig
	.addrsig_sym __hip_cuid_3e94337110ad86ac
	.amdgpu_metadata
---
amdhsa.kernels:
  - .agpr_count:     0
    .args:
      - .actual_access:  read_only
        .address_space:  global
        .offset:         0
        .size:           8
        .value_kind:     global_buffer
      - .address_space:  global
        .offset:         8
        .size:           8
        .value_kind:     global_buffer
      - .actual_access:  read_only
        .address_space:  global
        .offset:         16
        .size:           8
        .value_kind:     global_buffer
      - .actual_access:  read_only
        .address_space:  global
        .offset:         24
        .size:           8
        .value_kind:     global_buffer
      - .offset:         32
        .size:           8
        .value_kind:     by_value
      - .actual_access:  read_only
        .address_space:  global
        .offset:         40
        .size:           8
        .value_kind:     global_buffer
      - .actual_access:  read_only
        .address_space:  global
        .offset:         48
        .size:           8
        .value_kind:     global_buffer
      - .offset:         56
        .size:           4
        .value_kind:     by_value
      - .actual_access:  read_only
        .address_space:  global
        .offset:         64
        .size:           8
        .value_kind:     global_buffer
      - .actual_access:  read_only
        .address_space:  global
        .offset:         72
        .size:           8
        .value_kind:     global_buffer
      - .address_space:  global
        .offset:         80
        .size:           8
        .value_kind:     global_buffer
    .group_segment_fixed_size: 0
    .kernarg_segment_align: 8
    .kernarg_segment_size: 88
    .language:       OpenCL C
    .language_version:
      - 2
      - 0
    .max_flat_workgroup_size: 192
    .name:           fft_rtc_fwd_len96_factors_4_3_8_wgs_192_tpt_8_dim3_sp_ip_CI_sbcc_twdbase8_3step_dirReg
    .private_segment_fixed_size: 0
    .sgpr_count:     33
    .sgpr_spill_count: 0
    .symbol:         fft_rtc_fwd_len96_factors_4_3_8_wgs_192_tpt_8_dim3_sp_ip_CI_sbcc_twdbase8_3step_dirReg.kd
    .uniform_work_group_size: 1
    .uses_dynamic_stack: false
    .vgpr_count:     112
    .vgpr_spill_count: 0
    .wavefront_size: 64
amdhsa.target:   amdgcn-amd-amdhsa--gfx950
amdhsa.version:
  - 1
  - 2
...

	.end_amdgpu_metadata
